;; amdgpu-corpus repo=ROCm/rocFFT kind=compiled arch=gfx1030 opt=O3
	.text
	.amdgcn_target "amdgcn-amd-amdhsa--gfx1030"
	.amdhsa_code_object_version 6
	.protected	bluestein_single_fwd_len567_dim1_half_op_CI_CI ; -- Begin function bluestein_single_fwd_len567_dim1_half_op_CI_CI
	.globl	bluestein_single_fwd_len567_dim1_half_op_CI_CI
	.p2align	8
	.type	bluestein_single_fwd_len567_dim1_half_op_CI_CI,@function
bluestein_single_fwd_len567_dim1_half_op_CI_CI: ; @bluestein_single_fwd_len567_dim1_half_op_CI_CI
; %bb.0:
	s_load_dwordx4 s[12:15], s[4:5], 0x28
	v_mul_u32_u24_e32 v1, 0x411, v0
	v_mov_b32_e32 v13, 0
	s_mov_b32 s0, exec_lo
	v_lshrrev_b32_e32 v1, 16, v1
	v_add_nc_u32_e32 v12, s6, v1
	s_waitcnt lgkmcnt(0)
	v_cmpx_gt_u64_e64 s[12:13], v[12:13]
	s_cbranch_execz .LBB0_15
; %bb.1:
	s_clause 0x1
	s_load_dwordx4 s[8:11], s[4:5], 0x18
	s_load_dwordx2 s[12:13], s[4:5], 0x0
	v_mul_lo_u16 v1, v1, 63
	v_sub_nc_u16 v7, v0, v1
	v_and_b32_e32 v41, 0xffff, v7
	v_lshlrev_b32_e32 v35, 2, v41
	s_waitcnt lgkmcnt(0)
	s_load_dwordx4 s[0:3], s[8:9], 0x0
	s_waitcnt lgkmcnt(0)
	v_mad_u64_u32 v[0:1], null, s2, v12, 0
	v_mad_u64_u32 v[2:3], null, s0, v41, 0
	s_mul_hi_u32 s6, s0, 0x51
	s_mul_i32 s2, s0, 0x51
	v_mad_u64_u32 v[4:5], null, s3, v12, v[1:2]
	s_mul_i32 s3, s1, 0x51
	s_add_i32 s3, s6, s3
	s_lshl_b64 s[2:3], s[2:3], 2
	v_mad_u64_u32 v[5:6], null, s1, v41, v[3:4]
	v_mov_b32_e32 v1, v4
	v_lshlrev_b64 v[0:1], 2, v[0:1]
	v_mov_b32_e32 v3, v5
	v_add_co_u32 v0, vcc_lo, s14, v0
	v_lshlrev_b64 v[2:3], 2, v[2:3]
	v_add_co_ci_u32_e32 v1, vcc_lo, s15, v1, vcc_lo
	v_add_co_u32 v0, vcc_lo, v0, v2
	v_add_co_ci_u32_e32 v1, vcc_lo, v1, v3, vcc_lo
	v_add_co_u32 v2, vcc_lo, v0, s2
	v_add_co_ci_u32_e32 v3, vcc_lo, s3, v1, vcc_lo
	global_load_dword v4, v[0:1], off
	global_load_dword v43, v35, s[12:13]
	global_load_dword v5, v[2:3], off
	v_add_co_u32 v0, vcc_lo, v2, s2
	v_add_co_ci_u32_e32 v1, vcc_lo, s3, v3, vcc_lo
	s_clause 0x2
	global_load_dword v42, v35, s[12:13] offset:324
	global_load_dword v40, v35, s[12:13] offset:648
	;; [unrolled: 1-line block ×3, first 2 shown]
	v_add_co_u32 v2, vcc_lo, v0, s2
	v_add_co_ci_u32_e32 v3, vcc_lo, s3, v1, vcc_lo
	s_clause 0x1
	global_load_dword v6, v[0:1], off
	global_load_dword v10, v[2:3], off
	v_add_co_u32 v0, vcc_lo, v2, s2
	v_add_co_ci_u32_e32 v1, vcc_lo, s3, v3, vcc_lo
	v_add_co_u32 v2, vcc_lo, v0, s2
	v_add_co_ci_u32_e32 v3, vcc_lo, s3, v1, vcc_lo
	global_load_dword v11, v[0:1], off
	v_add_co_u32 v0, vcc_lo, v2, s2
	v_add_co_ci_u32_e32 v1, vcc_lo, s3, v3, vcc_lo
	global_load_dword v38, v35, s[12:13] offset:1296
	global_load_dword v2, v[2:3], off
	global_load_dword v3, v[0:1], off
	s_clause 0x1
	global_load_dword v37, v35, s[12:13] offset:1620
	global_load_dword v36, v35, s[12:13] offset:1944
	s_load_dwordx2 s[6:7], s[4:5], 0x38
	s_load_dwordx4 s[8:11], s[10:11], 0x0
	v_add_co_u32 v8, s12, s12, v35
	v_add_co_ci_u32_e64 v9, null, s13, 0, s12
	v_cmp_gt_u16_e32 vcc_lo, 18, v7
	s_waitcnt vmcnt(13)
	v_lshrrev_b32_e32 v13, 16, v4
	s_waitcnt vmcnt(12)
	v_mul_f16_sdwa v14, v43, v4 dst_sel:DWORD dst_unused:UNUSED_PAD src0_sel:WORD_1 src1_sel:DWORD
	s_waitcnt vmcnt(11)
	v_lshrrev_b32_e32 v16, 16, v5
	v_mul_f16_sdwa v15, v43, v13 dst_sel:DWORD dst_unused:UNUSED_PAD src0_sel:WORD_1 src1_sel:DWORD
	s_waitcnt vmcnt(10)
	v_mul_f16_sdwa v17, v42, v5 dst_sel:DWORD dst_unused:UNUSED_PAD src0_sel:WORD_1 src1_sel:DWORD
	v_fma_f16 v13, v43, v13, -v14
	v_fmac_f16_e32 v15, v43, v4
	v_mul_f16_sdwa v4, v42, v16 dst_sel:DWORD dst_unused:UNUSED_PAD src0_sel:WORD_1 src1_sel:DWORD
	s_waitcnt vmcnt(7)
	v_lshrrev_b32_e32 v14, 16, v6
	v_fma_f16 v16, v42, v16, -v17
	v_mul_f16_sdwa v17, v40, v6 dst_sel:DWORD dst_unused:UNUSED_PAD src0_sel:WORD_1 src1_sel:DWORD
	v_pack_b32_f16 v13, v15, v13
	v_fmac_f16_e32 v4, v42, v5
	s_waitcnt vmcnt(6)
	v_lshrrev_b32_e32 v15, 16, v10
	v_mul_f16_sdwa v5, v40, v14 dst_sel:DWORD dst_unused:UNUSED_PAD src0_sel:WORD_1 src1_sel:DWORD
	v_mul_f16_sdwa v18, v39, v10 dst_sel:DWORD dst_unused:UNUSED_PAD src0_sel:WORD_1 src1_sel:DWORD
	v_fma_f16 v14, v40, v14, -v17
	v_pack_b32_f16 v16, v4, v16
	v_mul_f16_sdwa v4, v39, v15 dst_sel:DWORD dst_unused:UNUSED_PAD src0_sel:WORD_1 src1_sel:DWORD
	v_fmac_f16_e32 v5, v40, v6
	v_fma_f16 v6, v39, v15, -v18
	s_waitcnt vmcnt(5)
	v_lshrrev_b32_e32 v15, 16, v11
	s_waitcnt vmcnt(4)
	v_mul_f16_sdwa v17, v38, v11 dst_sel:DWORD dst_unused:UNUSED_PAD src0_sel:WORD_1 src1_sel:DWORD
	v_fmac_f16_e32 v4, v39, v10
	s_waitcnt vmcnt(3)
	v_lshrrev_b32_e32 v10, 16, v2
	v_pack_b32_f16 v5, v5, v14
	s_waitcnt vmcnt(2)
	v_lshrrev_b32_e32 v14, 16, v3
	v_mul_f16_sdwa v18, v38, v15 dst_sel:DWORD dst_unused:UNUSED_PAD src0_sel:WORD_1 src1_sel:DWORD
	v_fma_f16 v15, v38, v15, -v17
	s_waitcnt vmcnt(1)
	v_mul_f16_sdwa v17, v37, v2 dst_sel:DWORD dst_unused:UNUSED_PAD src0_sel:WORD_1 src1_sel:DWORD
	v_mul_f16_sdwa v19, v37, v10 dst_sel:DWORD dst_unused:UNUSED_PAD src0_sel:WORD_1 src1_sel:DWORD
	s_waitcnt vmcnt(0)
	v_mul_f16_sdwa v20, v36, v14 dst_sel:DWORD dst_unused:UNUSED_PAD src0_sel:WORD_1 src1_sel:DWORD
	v_mul_f16_sdwa v21, v36, v3 dst_sel:DWORD dst_unused:UNUSED_PAD src0_sel:WORD_1 src1_sel:DWORD
	v_fmac_f16_e32 v18, v38, v11
	v_fma_f16 v10, v37, v10, -v17
	v_fmac_f16_e32 v19, v37, v2
	v_fmac_f16_e32 v20, v36, v3
	v_fma_f16 v2, v36, v14, -v21
	v_pack_b32_f16 v3, v4, v6
	v_add_nc_u32_e32 v4, 0x400, v35
	v_pack_b32_f16 v6, v18, v15
	v_pack_b32_f16 v10, v19, v10
	;; [unrolled: 1-line block ×3, first 2 shown]
	ds_write2_b32 v35, v13, v16 offset1:81
	ds_write2_b32 v35, v5, v3 offset0:162 offset1:243
	ds_write2_b32 v4, v6, v10 offset0:68 offset1:149
	ds_write_b32 v35, v2 offset:1944
	s_and_saveexec_b32 s12, vcc_lo
	s_cbranch_execz .LBB0_3
; %bb.2:
	v_mad_u64_u32 v[0:1], null, 0xfffff964, s0, v[0:1]
	s_mulk_i32 s1, 0xf964
	global_load_dword v7, v[8:9], off offset:252
	s_sub_i32 s0, s1, s0
	v_add_nc_u32_e32 v1, s0, v1
	v_add_co_u32 v2, s0, v0, s2
	v_add_co_ci_u32_e64 v3, s0, s3, v1, s0
	global_load_dword v10, v[0:1], off
	v_add_co_u32 v0, s0, v2, s2
	v_add_co_ci_u32_e64 v1, s0, s3, v3, s0
	global_load_dword v11, v[2:3], off
	v_add_co_u32 v2, s0, v0, s2
	v_add_co_ci_u32_e64 v3, s0, s3, v1, s0
	s_clause 0x1
	global_load_dword v13, v[8:9], off offset:576
	global_load_dword v14, v[8:9], off offset:900
	v_add_co_u32 v5, s0, v2, s2
	global_load_dword v15, v[0:1], off
	v_add_co_ci_u32_e64 v6, s0, s3, v3, s0
	v_add_co_u32 v0, s0, v5, s2
	v_add_co_ci_u32_e64 v1, s0, s3, v6, s0
	global_load_dword v16, v[2:3], off
	s_clause 0x1
	global_load_dword v17, v[8:9], off offset:1224
	global_load_dword v18, v[8:9], off offset:1548
	global_load_dword v5, v[5:6], off
	global_load_dword v6, v[0:1], off
	v_add_co_u32 v0, s0, v0, s2
	v_add_co_ci_u32_e64 v1, s0, s3, v1, s0
	v_add_co_u32 v2, s0, 0x800, v8
	v_add_co_ci_u32_e64 v3, s0, 0, v9, s0
	global_load_dword v0, v[0:1], off
	s_clause 0x1
	global_load_dword v1, v[8:9], off offset:1872
	global_load_dword v2, v[2:3], off offset:148
	s_waitcnt vmcnt(12)
	v_lshrrev_b32_e32 v3, 16, v10
	v_mul_f16_sdwa v19, v7, v10 dst_sel:DWORD dst_unused:UNUSED_PAD src0_sel:WORD_1 src1_sel:DWORD
	v_mul_f16_sdwa v20, v7, v3 dst_sel:DWORD dst_unused:UNUSED_PAD src0_sel:WORD_1 src1_sel:DWORD
	s_waitcnt vmcnt(11)
	v_lshrrev_b32_e32 v21, 16, v11
	v_fma_f16 v3, v7, v3, -v19
	s_waitcnt vmcnt(10)
	v_mul_f16_sdwa v22, v13, v11 dst_sel:DWORD dst_unused:UNUSED_PAD src0_sel:WORD_1 src1_sel:DWORD
	v_fmac_f16_e32 v20, v7, v10
	v_mul_f16_sdwa v7, v13, v21 dst_sel:DWORD dst_unused:UNUSED_PAD src0_sel:WORD_1 src1_sel:DWORD
	s_waitcnt vmcnt(8)
	v_lshrrev_b32_e32 v10, 16, v15
	v_fma_f16 v19, v13, v21, -v22
	v_mul_f16_sdwa v21, v14, v15 dst_sel:DWORD dst_unused:UNUSED_PAD src0_sel:WORD_1 src1_sel:DWORD
	v_fmac_f16_e32 v7, v13, v11
	s_waitcnt vmcnt(7)
	v_lshrrev_b32_e32 v13, 16, v16
	v_mul_f16_sdwa v11, v14, v10 dst_sel:DWORD dst_unused:UNUSED_PAD src0_sel:WORD_1 src1_sel:DWORD
	v_pack_b32_f16 v3, v20, v3
	v_fma_f16 v10, v14, v10, -v21
	s_waitcnt vmcnt(6)
	v_mul_f16_sdwa v20, v17, v16 dst_sel:DWORD dst_unused:UNUSED_PAD src0_sel:WORD_1 src1_sel:DWORD
	v_pack_b32_f16 v7, v7, v19
	v_fmac_f16_e32 v11, v14, v15
	v_mul_f16_sdwa v14, v17, v13 dst_sel:DWORD dst_unused:UNUSED_PAD src0_sel:WORD_1 src1_sel:DWORD
	s_waitcnt vmcnt(4)
	v_lshrrev_b32_e32 v15, 16, v5
	v_mul_f16_sdwa v19, v18, v5 dst_sel:DWORD dst_unused:UNUSED_PAD src0_sel:WORD_1 src1_sel:DWORD
	v_fma_f16 v13, v17, v13, -v20
	v_pack_b32_f16 v10, v11, v10
	s_waitcnt vmcnt(3)
	v_lshrrev_b32_e32 v11, 16, v6
	v_fmac_f16_e32 v14, v17, v16
	s_waitcnt vmcnt(2)
	v_lshrrev_b32_e32 v16, 16, v0
	v_mul_f16_sdwa v17, v18, v15 dst_sel:DWORD dst_unused:UNUSED_PAD src0_sel:WORD_1 src1_sel:DWORD
	v_fma_f16 v15, v18, v15, -v19
	s_waitcnt vmcnt(1)
	v_mul_f16_sdwa v19, v1, v6 dst_sel:DWORD dst_unused:UNUSED_PAD src0_sel:WORD_1 src1_sel:DWORD
	v_mul_f16_sdwa v20, v1, v11 dst_sel:DWORD dst_unused:UNUSED_PAD src0_sel:WORD_1 src1_sel:DWORD
	s_waitcnt vmcnt(0)
	v_mul_f16_sdwa v21, v2, v16 dst_sel:DWORD dst_unused:UNUSED_PAD src0_sel:WORD_1 src1_sel:DWORD
	v_mul_f16_sdwa v22, v2, v0 dst_sel:DWORD dst_unused:UNUSED_PAD src0_sel:WORD_1 src1_sel:DWORD
	v_fmac_f16_e32 v17, v18, v5
	v_fma_f16 v5, v1, v11, -v19
	v_fmac_f16_e32 v20, v1, v6
	v_fmac_f16_e32 v21, v2, v0
	v_fma_f16 v0, v2, v16, -v22
	v_pack_b32_f16 v1, v14, v13
	v_add_nc_u32_e32 v2, 0x200, v35
	v_pack_b32_f16 v6, v17, v15
	v_pack_b32_f16 v5, v20, v5
	;; [unrolled: 1-line block ×3, first 2 shown]
	ds_write2_b32 v35, v3, v7 offset0:63 offset1:144
	ds_write2_b32 v2, v10, v1 offset0:97 offset1:178
	;; [unrolled: 1-line block ×3, first 2 shown]
	ds_write_b32 v35, v0 offset:2196
.LBB0_3:
	s_or_b32 exec_lo, exec_lo, s12
	s_waitcnt lgkmcnt(0)
	s_barrier
	buffer_gl0_inv
	ds_read2_b32 v[0:1], v35 offset1:81
	ds_read2_b32 v[2:3], v35 offset0:162 offset1:243
	ds_read2_b32 v[4:5], v4 offset0:68 offset1:149
	ds_read_b32 v17, v35 offset:1944
	s_load_dwordx2 s[0:1], s[4:5], 0x8
	v_mov_b32_e32 v7, 0
	v_mov_b32_e32 v10, 0
	;; [unrolled: 1-line block ×4, first 2 shown]
                                        ; implicit-def: $vgpr15
	s_and_saveexec_b32 s2, vcc_lo
	s_cbranch_execz .LBB0_5
; %bb.4:
	v_add_nc_u32_e32 v6, 0x200, v35
	v_add_nc_u32_e32 v7, 0x400, v35
	ds_read_b32 v15, v35 offset:2196
	ds_read2_b32 v[10:11], v6 offset0:97 offset1:178
	ds_read2_b32 v[13:14], v7 offset0:131 offset1:212
	ds_read2_b32 v[6:7], v35 offset0:63 offset1:144
.LBB0_5:
	s_or_b32 exec_lo, exec_lo, s2
	s_waitcnt lgkmcnt(0)
	v_pk_add_f16 v16, v15, v7
	v_pk_add_f16 v20, v14, v10
	v_pk_add_f16 v7, v7, v15 neg_lo:[0,1] neg_hi:[0,1]
	v_pk_add_f16 v15, v11, v13
	v_pk_add_f16 v10, v10, v14 neg_lo:[0,1] neg_hi:[0,1]
	v_pk_add_f16 v11, v13, v11 neg_lo:[0,1] neg_hi:[0,1]
	v_pk_add_f16 v13, v20, v16
	v_pk_add_f16 v14, v20, v16 neg_lo:[0,1] neg_hi:[0,1]
	v_pk_add_f16 v16, v16, v15 neg_lo:[0,1] neg_hi:[0,1]
	;; [unrolled: 1-line block ×3, first 2 shown]
	v_pk_add_f16 v22, v10, v11 op_sel:[1,1] op_sel_hi:[0,0]
	v_pk_add_f16 v13, v13, v15
	v_pk_add_f16 v15, v11, v10 op_sel:[1,1] op_sel_hi:[0,0] neg_lo:[0,1] neg_hi:[0,1]
	v_pk_add_f16 v10, v10, v7 op_sel:[1,1] op_sel_hi:[0,0] neg_lo:[0,1] neg_hi:[0,1]
	;; [unrolled: 1-line block ×3, first 2 shown]
	v_pk_add_f16 v7, v7, v22 op_sel:[1,0] op_sel_hi:[0,1]
	v_pk_add_f16 v6, v13, v6
	v_pk_mul_f16 v16, 0x3a52, v16 op_sel_hi:[0,1]
	v_pk_mul_f16 v22, 0x2b26, v20 op_sel_hi:[0,1]
	;; [unrolled: 1-line block ×4, first 2 shown]
	v_pk_fma_f16 v13, 0x3cab, v13, v6 op_sel_hi:[0,1,1] neg_lo:[0,1,0] neg_hi:[0,1,0]
	v_pk_fma_f16 v20, 0x2b26, v20, v16 op_sel_hi:[0,1,1]
	v_pk_fma_f16 v16, 0x39e0, v14, v16 op_sel_hi:[0,1,1] neg_lo:[0,1,1] neg_hi:[0,1,1]
	v_pk_fma_f16 v23, 0x3574, v11, v23 op_sel_hi:[0,1,1] neg_lo:[0,1,1] neg_hi:[0,1,1]
	v_pk_fma_f16 v14, 0x39e0, v14, v22 op_sel_hi:[0,1,1] neg_lo:[0,0,1] neg_hi:[0,0,1]
	v_pk_fma_f16 v10, 0x3b00, v10, v15 op_sel_hi:[0,1,1] neg_lo:[0,0,1] neg_hi:[0,0,1]
	v_pk_fma_f16 v11, 0x3574, v11, v15 op_sel_hi:[0,1,1]
	v_pk_add_f16 v18, v1, v17
	v_pk_add_f16 v19, v2, v5
	;; [unrolled: 1-line block ×3, first 2 shown]
	v_pk_fma_f16 v16, 0x370e, v7, v23 op_sel_hi:[0,1,1]
	v_pk_add_f16 v14, v14, v13
	v_pk_fma_f16 v10, 0x370e, v7, v10 op_sel_hi:[0,1,1]
	v_pk_add_f16 v13, v20, v13
	;; [unrolled: 2-line block ×3, first 2 shown]
	v_pk_add_f16 v16, v15, v16 neg_lo:[0,1] neg_hi:[0,1]
	v_pk_add_f16 v15, v14, v10 neg_lo:[0,1] neg_hi:[0,1]
	v_pk_add_f16 v22, v14, v10
	v_pk_add_f16 v23, v3, v4
	v_pk_add_f16 v7, v13, v11 neg_lo:[0,1] neg_hi:[0,1]
	v_pk_add_f16 v10, v13, v11
	v_pk_add_f16 v11, v19, v18
	v_pk_add_f16 v1, v1, v17 neg_lo:[0,1] neg_hi:[0,1]
	v_pk_add_f16 v2, v2, v5 neg_lo:[0,1] neg_hi:[0,1]
	;; [unrolled: 1-line block ×4, first 2 shown]
	v_pk_add_f16 v4, v23, v11
	v_pk_add_f16 v11, v19, v18 neg_lo:[0,1] neg_hi:[0,1]
	v_pk_add_f16 v17, v2, v1 neg_lo:[0,1] neg_hi:[0,1]
	v_bfi_b32 v14, 0xffff, v15, v22
	v_bfi_b32 v15, 0xffff, v22, v15
	v_pk_add_f16 v22, v1, v3 neg_lo:[0,1] neg_hi:[0,1]
	v_pk_add_f16 v18, v3, v2
	v_pk_mul_f16 v5, 0x3a52, v5 op_sel_hi:[0,1]
	v_pk_mul_f16 v24, 0x39e0, v11 op_sel_hi:[0,1]
	;; [unrolled: 1-line block ×3, first 2 shown]
	v_pk_add_f16 v0, v0, v4
	v_pk_add_f16 v2, v3, v2 neg_lo:[0,1] neg_hi:[0,1]
	v_pk_add_f16 v3, v23, v19 neg_lo:[0,1] neg_hi:[0,1]
	v_pk_mul_f16 v19, 0x3574, v22 op_sel_hi:[0,1]
	v_pk_add_f16 v1, v18, v1
	v_pk_add_f16 v18, v5, v24 op_sel:[1,1] op_sel_hi:[0,0] neg_lo:[1,1] neg_hi:[1,1]
	v_pk_fma_f16 v25, 0x3574, v22, v17 op_sel_hi:[0,1,1] neg_lo:[0,1,1] neg_hi:[0,1,1]
	v_pk_fma_f16 v4, 0x3cab, v4, v0 op_sel_hi:[0,1,1] neg_lo:[0,1,0] neg_hi:[0,1,0]
	;; [unrolled: 1-line block ×4, first 2 shown]
	v_pk_fma_f16 v2, 0xb846, v2, v19 op_sel_hi:[0,1,1]
	v_pk_fma_f16 v3, 0x2b26, v3, v5 op_sel_hi:[0,1,1]
	;; [unrolled: 1-line block ×3, first 2 shown]
	v_pk_add_f16 v18, v18, v4 op_sel:[0,1] op_sel_hi:[1,0]
	v_pk_fma_f16 v5, 0x370e, v1, v17 op_sel_hi:[0,1,1]
	v_pk_add_f16 v17, v23, v4
	v_pk_fma_f16 v1, 0x370e, v1, v2 op_sel_hi:[0,1,1]
	v_pk_add_f16 v2, v3, v4
	v_add_co_u32 v21, null, v41, 63
	v_bfi_b32 v13, 0xffff, v20, v16
	v_bfi_b32 v16, 0xffff, v16, v20
	v_mul_lo_u16 v20, v41, 7
	v_mov_b32_e32 v11, 2
	v_pk_add_f16 v19, v18, v22
	v_pk_add_f16 v3, v18, v22 neg_lo:[0,1] neg_hi:[0,1]
	v_pk_add_f16 v4, v17, v5 op_sel:[0,1] op_sel_hi:[1,0] neg_lo:[0,1] neg_hi:[0,1]
	v_pk_add_f16 v5, v17, v5 op_sel:[0,1] op_sel_hi:[1,0]
	v_pk_add_f16 v17, v2, v1 op_sel:[0,1] op_sel_hi:[1,0]
	v_pk_add_f16 v1, v2, v1 op_sel:[0,1] op_sel_hi:[1,0] neg_lo:[0,1] neg_hi:[0,1]
	v_bfi_b32 v45, 0xffff, v7, v10
	v_lshlrev_b32_sdwa v47, v11, v20 dst_sel:DWORD dst_unused:UNUSED_PAD src0_sel:DWORD src1_sel:WORD_0
	v_alignbit_b32 v2, v3, v19, 16
	v_bfi_b32 v18, 0xffff, v4, v5
	v_mul_u32_u24_e32 v44, 7, v21
	v_bfi_b32 v4, 0xffff, v5, v4
	v_alignbit_b32 v3, v19, v3, 16
	v_bfi_b32 v5, 0xffff, v17, v1
	v_bfi_b32 v1, 0xffff, v1, v17
	s_barrier
	buffer_gl0_inv
	ds_write2_b32 v47, v2, v18 offset0:2 offset1:3
	ds_write2_b32 v47, v4, v3 offset0:4 offset1:5
	ds_write2_b32 v47, v0, v5 offset1:1
	ds_write_b32 v47, v1 offset:24
	s_and_saveexec_b32 s2, vcc_lo
	s_cbranch_execz .LBB0_7
; %bb.6:
	v_lshlrev_b32_e32 v0, 2, v44
	v_bfi_b32 v1, 0xffff, v10, v7
	ds_write2_b32 v0, v6, v1 offset1:1
	ds_write2_b32 v0, v13, v14 offset0:2 offset1:3
	ds_write2_b32 v0, v15, v16 offset0:4 offset1:5
	ds_write_b32 v0, v45 offset:24
.LBB0_7:
	s_or_b32 exec_lo, exec_lo, s2
	v_and_b32_e32 v0, 0xff, v41
	s_waitcnt lgkmcnt(0)
	s_barrier
	buffer_gl0_inv
	v_add_co_u32 v10, null, 0x7e, v41
	v_mul_lo_u16 v0, v0, 37
	v_add_nc_u32_e32 v33, 0x400, v35
	v_add_nc_u32_e32 v31, 0x200, v35
	v_and_b32_e32 v17, 0xff, v10
	v_mov_b32_e32 v32, 63
	v_lshrrev_b16 v0, 8, v0
	v_mov_b32_e32 v34, 3
	v_mul_lo_u16 v17, v17, 5
	v_sub_nc_u16 v1, v41, v0
	v_lshrrev_b16 v22, 8, v17
	v_lshrrev_b16 v1, 1, v1
	v_sub_nc_u16 v25, v10, v22
	v_and_b32_e32 v1, 0x7f, v1
	v_lshrrev_b16 v30, 1, v25
	v_add_nc_u16 v0, v1, v0
	v_and_b32_e32 v30, 0x7f, v30
	v_lshrrev_b16 v27, 2, v0
	v_add_nc_u16 v30, v30, v22
	v_lshlrev_b32_e32 v22, 3, v41
	v_mul_lo_u16 v0, v27, 7
	v_mul_u32_u24_sdwa v27, v27, v32 dst_sel:DWORD dst_unused:UNUSED_PAD src0_sel:WORD_0 src1_sel:DWORD
	v_lshrrev_b16 v30, 5, v30
	v_sub_nc_u16 v0, v41, v0
	v_mul_lo_u16 v30, v30, 63
	v_and_b32_e32 v28, 0xff, v0
	v_sub_nc_u16 v56, v10, v30
	v_lshlrev_b32_e32 v10, 3, v10
	v_lshlrev_b32_e32 v0, 5, v28
	v_add_lshl_u32 v46, v27, v28, 2
	s_clause 0x1
	global_load_dwordx4 v[4:7], v0, s[0:1]
	global_load_dwordx4 v[0:3], v0, s[0:1] offset:16
	ds_read2_b32 v[17:18], v35 offset1:63
	ds_read2_b32 v[19:20], v35 offset0:126 offset1:189
	ds_read_b32 v29, v35 offset:2016
	ds_read2_b32 v[23:24], v31 offset0:124 offset1:187
	ds_read2_b32 v[25:26], v33 offset0:122 offset1:185
	s_waitcnt vmcnt(0) lgkmcnt(0)
	s_barrier
	buffer_gl0_inv
	v_lshrrev_b32_e32 v49, 16, v18
	v_lshrrev_b32_e32 v50, 16, v19
	;; [unrolled: 1-line block ×9, first 2 shown]
	v_mul_f16_sdwa v27, v49, v4 dst_sel:DWORD dst_unused:UNUSED_PAD src0_sel:DWORD src1_sel:WORD_1
	v_mul_f16_sdwa v28, v18, v4 dst_sel:DWORD dst_unused:UNUSED_PAD src0_sel:DWORD src1_sel:WORD_1
	v_mul_f16_sdwa v30, v50, v5 dst_sel:DWORD dst_unused:UNUSED_PAD src0_sel:DWORD src1_sel:WORD_1
	v_mul_f16_sdwa v57, v19, v5 dst_sel:DWORD dst_unused:UNUSED_PAD src0_sel:DWORD src1_sel:WORD_1
	v_mul_f16_sdwa v60, v53, v7 dst_sel:DWORD dst_unused:UNUSED_PAD src0_sel:DWORD src1_sel:WORD_1
	v_mul_f16_sdwa v62, v32, v0 dst_sel:DWORD dst_unused:UNUSED_PAD src0_sel:DWORD src1_sel:WORD_1
	v_mul_f16_sdwa v66, v55, v2 dst_sel:DWORD dst_unused:UNUSED_PAD src0_sel:DWORD src1_sel:WORD_1
	v_mul_f16_sdwa v67, v26, v2 dst_sel:DWORD dst_unused:UNUSED_PAD src0_sel:DWORD src1_sel:WORD_1
	v_mul_f16_sdwa v68, v52, v3 dst_sel:DWORD dst_unused:UNUSED_PAD src0_sel:DWORD src1_sel:WORD_1
	v_mul_f16_sdwa v69, v29, v3 dst_sel:DWORD dst_unused:UNUSED_PAD src0_sel:DWORD src1_sel:WORD_1
	v_mul_f16_sdwa v58, v51, v6 dst_sel:DWORD dst_unused:UNUSED_PAD src0_sel:DWORD src1_sel:WORD_1
	v_mul_f16_sdwa v59, v20, v6 dst_sel:DWORD dst_unused:UNUSED_PAD src0_sel:DWORD src1_sel:WORD_1
	v_mul_f16_sdwa v61, v23, v7 dst_sel:DWORD dst_unused:UNUSED_PAD src0_sel:DWORD src1_sel:WORD_1
	v_mul_f16_sdwa v63, v24, v0 dst_sel:DWORD dst_unused:UNUSED_PAD src0_sel:DWORD src1_sel:WORD_1
	v_mul_f16_sdwa v64, v54, v1 dst_sel:DWORD dst_unused:UNUSED_PAD src0_sel:DWORD src1_sel:WORD_1
	v_mul_f16_sdwa v65, v25, v1 dst_sel:DWORD dst_unused:UNUSED_PAD src0_sel:DWORD src1_sel:WORD_1
	v_fmac_f16_e32 v28, v49, v4
	v_fmac_f16_e32 v57, v50, v5
	v_fma_f16 v18, v18, v4, -v27
	v_fma_f16 v19, v19, v5, -v30
	;; [unrolled: 1-line block ×5, first 2 shown]
	v_fmac_f16_e32 v69, v52, v3
	v_fma_f16 v26, v26, v2, -v66
	v_fmac_f16_e32 v67, v55, v2
	v_fma_f16 v20, v20, v6, -v58
	v_fmac_f16_e32 v59, v51, v6
	v_fmac_f16_e32 v61, v53, v7
	v_fmac_f16_e32 v63, v32, v0
	v_fma_f16 v25, v25, v1, -v64
	v_fmac_f16_e32 v65, v54, v1
	v_add_f16_e32 v29, v18, v27
	v_add_f16_e32 v30, v28, v69
	v_add_f16_e32 v32, v19, v26
	v_add_f16_e32 v49, v57, v67
	v_sub_f16_e32 v18, v18, v27
	v_sub_f16_e32 v27, v28, v69
	;; [unrolled: 1-line block ×3, first 2 shown]
	v_add_f16_e32 v50, v20, v25
	v_add_f16_e32 v51, v59, v65
	v_sub_f16_e32 v19, v19, v26
	v_sub_f16_e32 v26, v57, v67
	v_add_f16_e32 v53, v23, v24
	v_add_f16_e32 v54, v61, v63
	;; [unrolled: 1-line block ×3, first 2 shown]
	v_mul_f16_e32 v57, 0x3924, v18
	v_add_f16_e32 v58, v49, v30
	v_mul_f16_e32 v60, 0xb924, v28
	v_mul_f16_e32 v64, 0x3be1, v28
	v_sub_f16_e32 v20, v20, v25
	v_add_f16_e32 v74, v53, v55
	v_add_f16_e32 v75, v54, v58
	v_fmac_f16_e32 v57, 0x3be1, v19
	v_fmac_f16_e32 v60, 0x3be1, v18
	v_fma_f16 v64, v19, 0xb924, -v64
	v_add_f16_e32 v55, v50, v55
	v_add_f16_e32 v58, v51, v58
	;; [unrolled: 1-line block ×3, first 2 shown]
	v_fmac_f16_e32 v57, 0x3aee, v20
	v_fmac_f16_e32 v60, 0xbaee, v20
	;; [unrolled: 1-line block ×3, first 2 shown]
	v_add_f16_e32 v20, v23, v55
	v_add_f16_e32 v23, v61, v58
	v_sub_f16_e32 v52, v61, v63
	v_sub_f16_e32 v69, v69, v19
	v_fmac_f16_e32 v60, 0x3579, v19
	v_add_f16_e32 v19, v24, v20
	v_add_f16_e32 v20, v63, v23
	v_mul_f16_e32 v66, 0xb924, v52
	v_fmamk_f16 v71, v53, 0x3a21, v17
	v_fmamk_f16 v72, v54, 0x3a21, v48
	v_sub_f16_e32 v25, v59, v65
	v_mul_f16_e32 v65, 0x3924, v27
	v_fmamk_f16 v68, v29, 0x3a21, v17
	v_fmamk_f16 v70, v30, 0x3a21, v48
	v_add_f16_e32 v59, v50, v17
	v_add_f16_e32 v62, v51, v48
	v_mul_f16_e32 v67, 0x3be1, v52
	v_fmac_f16_e32 v64, 0x3579, v18
	v_add_f16_e32 v18, v19, v17
	v_add_f16_e32 v19, v20, v48
	v_fmac_f16_e32 v17, 0x3a21, v32
	v_fmac_f16_e32 v48, 0x3a21, v49
	;; [unrolled: 1-line block ×8, first 2 shown]
	v_fma_f16 v67, v26, 0xb924, -v67
	v_fmac_f16_e32 v17, 0x318f, v53
	v_fmac_f16_e32 v48, 0x318f, v54
	v_add_f16_e32 v73, v52, v27
	v_fmac_f16_e32 v66, 0xbaee, v25
	v_fmac_f16_e32 v71, -0.5, v50
	v_fmac_f16_e32 v72, -0.5, v51
	v_fmac_f16_e32 v65, 0x3aee, v25
	v_fmac_f16_e32 v68, -0.5, v50
	v_fmac_f16_e32 v70, -0.5, v51
	v_fmac_f16_e32 v67, 0x3aee, v25
	v_fmac_f16_e32 v17, -0.5, v50
	v_fmac_f16_e32 v48, -0.5, v51
	v_sub_f16_e32 v73, v73, v26
	v_fmac_f16_e32 v59, -0.5, v74
	v_fmac_f16_e32 v62, -0.5, v75
	v_fmac_f16_e32 v66, 0x3579, v26
	v_fmac_f16_e32 v71, 0xbb84, v32
	;; [unrolled: 1-line block ×10, first 2 shown]
	v_mul_f16_e32 v25, 0x3aee, v69
	v_mul_f16_e32 v55, 0x3aee, v73
	v_fmac_f16_e32 v59, 0x3aee, v73
	v_fmac_f16_e32 v62, 0xbaee, v69
	v_add_f16_e32 v24, v66, v71
	v_sub_f16_e32 v26, v72, v60
	v_add_f16_e32 v20, v65, v68
	v_sub_f16_e32 v23, v70, v57
	;; [unrolled: 2-line block ×3, first 2 shown]
	v_fma_f16 v27, -2.0, v55, v59
	v_fma_f16 v25, 2.0, v25, v62
	v_fma_f16 v30, -2.0, v66, v24
	v_fma_f16 v49, 2.0, v60, v26
	;; [unrolled: 2-line block ×3, first 2 shown]
	v_pack_b32_f16 v18, v18, v19
	v_pack_b32_f16 v19, v20, v23
	;; [unrolled: 1-line block ×3, first 2 shown]
	v_fma_f16 v23, -2.0, v67, v17
	v_fma_f16 v24, 2.0, v64, v48
	v_pack_b32_f16 v28, v59, v62
	v_pack_b32_f16 v25, v27, v25
	v_pack_b32_f16 v26, v30, v49
	v_pack_b32_f16 v27, v32, v29
	v_pack_b32_f16 v17, v17, v48
	v_pack_b32_f16 v23, v23, v24
	ds_write2_b32 v46, v18, v19 offset1:7
	ds_write2_b32 v46, v20, v28 offset0:14 offset1:21
	ds_write2_b32 v46, v25, v26 offset0:42 offset1:49
	ds_write_b32 v46, v27 offset:224
	ds_write2_b32 v46, v17, v23 offset0:28 offset1:35
	v_lshlrev_b32_sdwa v17, v34, v56 dst_sel:DWORD dst_unused:UNUSED_PAD src0_sel:DWORD src1_sel:BYTE_0
	s_waitcnt lgkmcnt(0)
	s_barrier
	buffer_gl0_inv
	s_clause 0x1
	global_load_dwordx2 v[19:20], v22, s[0:1] offset:224
	global_load_dwordx2 v[17:18], v17, s[0:1] offset:224
	ds_read2_b32 v[23:24], v35 offset1:63
	ds_read2_b32 v[25:26], v35 offset0:126 offset1:189
	ds_read2_b32 v[27:28], v33 offset0:122 offset1:185
	;; [unrolled: 1-line block ×3, first 2 shown]
	ds_read_b32 v32, v35 offset:2016
	v_lshlrev_b32_sdwa v48, v11, v56 dst_sel:DWORD dst_unused:UNUSED_PAD src0_sel:DWORD src1_sel:BYTE_0
	v_lshlrev_b32_e32 v11, 3, v21
	s_waitcnt vmcnt(0) lgkmcnt(0)
	s_barrier
	buffer_gl0_inv
	v_add_nc_u32_e32 v21, 0x400, v48
	v_lshrrev_b32_e32 v34, 16, v23
	v_lshrrev_b32_e32 v49, 16, v26
	;; [unrolled: 1-line block ×9, first 2 shown]
	v_mul_f16_sdwa v57, v49, v19 dst_sel:DWORD dst_unused:UNUSED_PAD src0_sel:DWORD src1_sel:WORD_1
	v_mul_f16_sdwa v58, v26, v19 dst_sel:DWORD dst_unused:UNUSED_PAD src0_sel:DWORD src1_sel:WORD_1
	;; [unrolled: 1-line block ×12, first 2 shown]
	v_fmac_f16_e32 v58, v49, v19
	v_fma_f16 v26, v26, v19, -v57
	v_fma_f16 v27, v27, v20, -v59
	v_fmac_f16_e32 v60, v50, v20
	v_fma_f16 v29, v29, v19, -v61
	v_fmac_f16_e32 v62, v52, v19
	;; [unrolled: 2-line block ×5, first 2 shown]
	v_add_f16_e32 v50, v26, v27
	v_add_f16_e32 v55, v58, v60
	;; [unrolled: 1-line block ×5, first 2 shown]
	v_sub_f16_e32 v65, v66, v68
	v_add_f16_e32 v67, v54, v66
	v_add_f16_e32 v66, v66, v68
	;; [unrolled: 1-line block ×3, first 2 shown]
	v_sub_f16_e32 v52, v58, v60
	v_add_f16_e32 v53, v34, v58
	v_sub_f16_e32 v26, v26, v27
	v_sub_f16_e32 v58, v62, v64
	v_add_f16_e32 v59, v51, v62
	v_add_f16_e32 v62, v25, v30
	v_fma_f16 v23, -0.5, v50, v23
	v_fmac_f16_e32 v34, -0.5, v55
	v_add_f16_e32 v56, v24, v29
	v_sub_f16_e32 v29, v29, v28
	v_fmac_f16_e32 v24, -0.5, v57
	v_fmac_f16_e32 v51, -0.5, v61
	v_sub_f16_e32 v30, v30, v32
	v_fmac_f16_e32 v25, -0.5, v63
	v_fmac_f16_e32 v54, -0.5, v66
	v_add_f16_e32 v27, v49, v27
	v_add_f16_e32 v49, v53, v60
	;; [unrolled: 1-line block ×4, first 2 shown]
	v_fmamk_f16 v55, v52, 0x3aee, v23
	v_fmac_f16_e32 v23, 0xbaee, v52
	v_fmamk_f16 v52, v26, 0xbaee, v34
	v_add_f16_e32 v28, v56, v28
	v_add_f16_e32 v50, v59, v64
	v_fmac_f16_e32 v34, 0x3aee, v26
	v_fmamk_f16 v26, v58, 0x3aee, v24
	v_fmac_f16_e32 v24, 0xbaee, v58
	v_fmamk_f16 v56, v29, 0xbaee, v51
	;; [unrolled: 2-line block ×3, first 2 shown]
	v_fmamk_f16 v57, v30, 0xbaee, v54
	v_fmac_f16_e32 v25, 0xbaee, v65
	v_fmac_f16_e32 v54, 0x3aee, v30
	v_pack_b32_f16 v27, v27, v49
	v_pack_b32_f16 v30, v32, v53
	;; [unrolled: 1-line block ×9, first 2 shown]
	ds_write2_b32 v35, v27, v32 offset1:63
	ds_write2_b32 v35, v23, v28 offset0:126 offset1:189
	ds_write2_b32 v31, v26, v24 offset0:124 offset1:187
	;; [unrolled: 1-line block ×3, first 2 shown]
	ds_write_b32 v48, v25 offset:2016
	s_waitcnt lgkmcnt(0)
	s_barrier
	buffer_gl0_inv
	s_clause 0x2
	global_load_dwordx2 v[25:26], v22, s[0:1] offset:728
	global_load_dwordx2 v[23:24], v11, s[0:1] offset:728
	;; [unrolled: 1-line block ×3, first 2 shown]
	ds_read2_b32 v[27:28], v35 offset1:63
	ds_read2_b32 v[49:50], v35 offset0:126 offset1:189
	ds_read2_b32 v[51:52], v33 offset0:122 offset1:185
	;; [unrolled: 1-line block ×3, first 2 shown]
	ds_read_b32 v32, v35 offset:2016
	v_add_co_u32 v29, s0, 0x8dc, v8
	v_add_co_ci_u32_e64 v30, s0, 0, v9, s0
	v_add_co_u32 v10, s0, 0x800, v8
	v_add_co_ci_u32_e64 v11, s0, 0, v9, s0
	s_waitcnt lgkmcnt(4)
	v_lshrrev_b32_e32 v34, 16, v27
	s_waitcnt lgkmcnt(3)
	v_lshrrev_b32_e32 v55, 16, v50
	;; [unrolled: 2-line block ×4, first 2 shown]
	v_lshrrev_b32_e32 v59, 16, v52
	v_lshrrev_b32_e32 v57, 16, v28
	s_waitcnt vmcnt(1)
	v_mul_f16_sdwa v64, v58, v23 dst_sel:DWORD dst_unused:UNUSED_PAD src0_sel:DWORD src1_sel:WORD_1
	v_mul_f16_sdwa v60, v55, v25 dst_sel:DWORD dst_unused:UNUSED_PAD src0_sel:DWORD src1_sel:WORD_1
	v_mul_f16_sdwa v61, v50, v25 dst_sel:DWORD dst_unused:UNUSED_PAD src0_sel:DWORD src1_sel:WORD_1
	v_mul_f16_sdwa v62, v56, v26 dst_sel:DWORD dst_unused:UNUSED_PAD src0_sel:DWORD src1_sel:WORD_1
	v_mul_f16_sdwa v63, v51, v26 dst_sel:DWORD dst_unused:UNUSED_PAD src0_sel:DWORD src1_sel:WORD_1
	s_waitcnt vmcnt(0)
	v_pk_mul_f16 v68, v54, v21 op_sel:[0,1]
	s_waitcnt lgkmcnt(0)
	v_pk_mul_f16 v69, v32, v22 op_sel:[0,1]
	v_mul_f16_sdwa v65, v53, v23 dst_sel:DWORD dst_unused:UNUSED_PAD src0_sel:DWORD src1_sel:WORD_1
	v_mul_f16_sdwa v66, v59, v24 dst_sel:DWORD dst_unused:UNUSED_PAD src0_sel:DWORD src1_sel:WORD_1
	;; [unrolled: 1-line block ×3, first 2 shown]
	v_fmac_f16_e32 v61, v55, v25
	v_fmac_f16_e32 v63, v56, v26
	v_fma_f16 v50, v50, v25, -v60
	v_fma_f16 v51, v51, v26, -v62
	v_pk_fma_f16 v55, v54, v21, v68 op_sel:[0,0,1] op_sel_hi:[1,1,0] neg_lo:[0,0,1] neg_hi:[0,0,1]
	v_pk_fma_f16 v54, v54, v21, v68 op_sel:[0,0,1] op_sel_hi:[1,0,0]
	v_pk_fma_f16 v56, v32, v22, v69 op_sel:[0,0,1] op_sel_hi:[1,1,0] neg_lo:[0,0,1] neg_hi:[0,0,1]
	v_pk_fma_f16 v32, v32, v22, v69 op_sel:[0,0,1] op_sel_hi:[1,0,0]
	v_fma_f16 v53, v53, v23, -v64
	v_fmac_f16_e32 v65, v58, v23
	v_fma_f16 v52, v52, v24, -v66
	v_fmac_f16_e32 v67, v59, v24
	v_add_f16_e32 v59, v50, v51
	v_sub_f16_e32 v60, v61, v63
	v_add_f16_e32 v62, v34, v61
	v_add_f16_e32 v61, v61, v63
	v_bfi_b32 v54, 0xffff, v55, v54
	v_bfi_b32 v32, 0xffff, v56, v32
	v_add_f16_e32 v55, v53, v52
	v_sub_f16_e32 v56, v65, v67
	v_add_f16_e32 v66, v57, v65
	v_add_f16_e32 v65, v65, v67
	;; [unrolled: 1-line block ×3, first 2 shown]
	v_sub_f16_e32 v50, v50, v51
	v_fma_f16 v27, -0.5, v59, v27
	v_fmac_f16_e32 v34, -0.5, v61
	v_pk_add_f16 v59, v54, v32
	v_pk_add_f16 v61, v54, v32 neg_lo:[0,1] neg_hi:[0,1]
	v_add_f16_e32 v64, v28, v53
	v_sub_f16_e32 v53, v53, v52
	v_fmac_f16_e32 v28, -0.5, v55
	v_fmac_f16_e32 v57, -0.5, v65
	v_add_f16_e32 v51, v58, v51
	v_add_f16_e32 v58, v62, v63
	v_pk_add_f16 v54, v49, v54
	v_fmamk_f16 v62, v60, 0x3aee, v27
	v_fmac_f16_e32 v27, 0xbaee, v60
	v_fmamk_f16 v60, v50, 0xbaee, v34
	v_pk_fma_f16 v49, v59, -0.5, v49 op_sel_hi:[1,0,1]
	v_pk_mul_f16 v59, 0x3aee, v61 op_sel_hi:[0,1]
	v_fmac_f16_e32 v34, 0x3aee, v50
	v_add_f16_e32 v52, v64, v52
	v_add_f16_e32 v55, v66, v67
	v_fmamk_f16 v50, v56, 0x3aee, v28
	v_fmac_f16_e32 v28, 0xbaee, v56
	v_fmamk_f16 v56, v53, 0xbaee, v57
	v_fmac_f16_e32 v57, 0x3aee, v53
	v_pk_add_f16 v32, v54, v32
	v_pk_add_f16 v53, v49, v59 op_sel:[0,1] op_sel_hi:[1,0]
	v_pk_add_f16 v49, v49, v59 op_sel:[0,1] op_sel_hi:[1,0] neg_lo:[0,1] neg_hi:[0,1]
	v_pack_b32_f16 v54, v62, v60
	v_pack_b32_f16 v34, v27, v34
	;; [unrolled: 1-line block ×6, first 2 shown]
	v_bfi_b32 v27, 0xffff, v53, v49
	v_bfi_b32 v28, 0xffff, v49, v53
	ds_write_b32 v35, v54 offset:756
	ds_write_b32 v35, v34 offset:1512
	ds_write2_b32 v35, v51, v52 offset1:63
	ds_write_b32 v35, v55 offset:1764
	ds_write_b32 v35, v32 offset:504
	ds_write2_b32 v31, v50, v27 offset0:124 offset1:187
	ds_write_b32 v35, v28 offset:2016
	s_waitcnt lgkmcnt(0)
	s_barrier
	buffer_gl0_inv
	s_clause 0x6
	global_load_dword v32, v[10:11], off offset:220
	global_load_dword v34, v[29:30], off offset:324
	;; [unrolled: 1-line block ×7, first 2 shown]
	ds_read2_b32 v[49:50], v35 offset1:81
	s_waitcnt lgkmcnt(0)
	v_lshrrev_b32_e32 v51, 16, v49
	v_lshrrev_b32_e32 v52, 16, v50
	s_waitcnt vmcnt(6)
	v_mul_f16_sdwa v58, v51, v32 dst_sel:DWORD dst_unused:UNUSED_PAD src0_sel:DWORD src1_sel:WORD_1
	v_mul_f16_sdwa v59, v49, v32 dst_sel:DWORD dst_unused:UNUSED_PAD src0_sel:DWORD src1_sel:WORD_1
	s_waitcnt vmcnt(5)
	v_mul_f16_sdwa v60, v52, v34 dst_sel:DWORD dst_unused:UNUSED_PAD src0_sel:DWORD src1_sel:WORD_1
	v_mul_f16_sdwa v61, v50, v34 dst_sel:DWORD dst_unused:UNUSED_PAD src0_sel:DWORD src1_sel:WORD_1
	v_fma_f16 v49, v49, v32, -v58
	v_fmac_f16_e32 v59, v51, v32
	v_fma_f16 v32, v50, v34, -v60
	v_fmac_f16_e32 v61, v52, v34
	v_pack_b32_f16 v34, v49, v59
	v_pack_b32_f16 v32, v32, v61
	ds_write2_b32 v35, v34, v32 offset1:81
	ds_read2_b32 v[49:50], v35 offset0:162 offset1:243
	ds_read2_b32 v[51:52], v33 offset0:68 offset1:149
	ds_read_b32 v32, v35 offset:1944
	s_waitcnt lgkmcnt(2)
	v_lshrrev_b32_e32 v34, 16, v49
	s_waitcnt vmcnt(4)
	v_mul_f16_sdwa v58, v49, v53 dst_sel:DWORD dst_unused:UNUSED_PAD src0_sel:DWORD src1_sel:WORD_1
	v_lshrrev_b32_e32 v59, 16, v50
	s_waitcnt vmcnt(3)
	v_mul_f16_sdwa v60, v50, v54 dst_sel:DWORD dst_unused:UNUSED_PAD src0_sel:DWORD src1_sel:WORD_1
	s_waitcnt lgkmcnt(1)
	v_lshrrev_b32_e32 v61, 16, v51
	s_waitcnt vmcnt(2)
	v_mul_f16_sdwa v62, v51, v55 dst_sel:DWORD dst_unused:UNUSED_PAD src0_sel:DWORD src1_sel:WORD_1
	v_lshrrev_b32_e32 v63, 16, v52
	s_waitcnt vmcnt(1)
	v_mul_f16_sdwa v64, v52, v56 dst_sel:DWORD dst_unused:UNUSED_PAD src0_sel:DWORD src1_sel:WORD_1
	s_waitcnt lgkmcnt(0)
	v_lshrrev_b32_e32 v65, 16, v32
	v_mul_f16_sdwa v67, v34, v53 dst_sel:DWORD dst_unused:UNUSED_PAD src0_sel:DWORD src1_sel:WORD_1
	v_fmac_f16_e32 v58, v34, v53
	v_mul_f16_sdwa v34, v59, v54 dst_sel:DWORD dst_unused:UNUSED_PAD src0_sel:DWORD src1_sel:WORD_1
	v_fmac_f16_e32 v60, v59, v54
	;; [unrolled: 2-line block ×3, first 2 shown]
	v_mul_f16_sdwa v61, v63, v56 dst_sel:DWORD dst_unused:UNUSED_PAD src0_sel:DWORD src1_sel:WORD_1
	s_waitcnt vmcnt(0)
	v_mul_f16_sdwa v66, v32, v57 dst_sel:DWORD dst_unused:UNUSED_PAD src0_sel:DWORD src1_sel:WORD_1
	v_fmac_f16_e32 v64, v63, v56
	v_mul_f16_sdwa v63, v65, v57 dst_sel:DWORD dst_unused:UNUSED_PAD src0_sel:DWORD src1_sel:WORD_1
	v_fma_f16 v49, v49, v53, -v67
	v_fma_f16 v34, v50, v54, -v34
	;; [unrolled: 1-line block ×4, first 2 shown]
	v_fmac_f16_e32 v66, v65, v57
	v_fma_f16 v32, v32, v57, -v63
	v_pack_b32_f16 v49, v49, v58
	v_pack_b32_f16 v34, v34, v60
	;; [unrolled: 1-line block ×5, first 2 shown]
	ds_write2_b32 v35, v49, v34 offset0:162 offset1:243
	ds_write2_b32 v33, v50, v51 offset0:68 offset1:149
	ds_write_b32 v35, v32 offset:1944
	s_and_saveexec_b32 s1, vcc_lo
	s_cbranch_execz .LBB0_9
; %bb.8:
	s_clause 0x5
	global_load_dword v32, v[29:30], off offset:252
	global_load_dword v34, v[29:30], off offset:576
	;; [unrolled: 1-line block ×6, first 2 shown]
	v_add_co_u32 v29, s0, 0x800, v29
	v_add_co_ci_u32_e64 v30, s0, 0, v30, s0
	global_load_dword v57, v[29:30], off offset:148
	ds_read2_b32 v[29:30], v35 offset0:63 offset1:144
	ds_read2_b32 v[49:50], v31 offset0:97 offset1:178
	ds_read2_b32 v[51:52], v33 offset0:131 offset1:212
	ds_read_b32 v58, v35 offset:2196
	s_waitcnt lgkmcnt(3)
	v_lshrrev_b32_e32 v59, 16, v29
	v_lshrrev_b32_e32 v60, 16, v30
	s_waitcnt lgkmcnt(2)
	v_lshrrev_b32_e32 v61, 16, v49
	v_lshrrev_b32_e32 v62, 16, v50
	;; [unrolled: 3-line block ×3, first 2 shown]
	s_waitcnt lgkmcnt(0)
	v_lshrrev_b32_e32 v65, 16, v58
	s_waitcnt vmcnt(6)
	v_mul_f16_sdwa v66, v59, v32 dst_sel:DWORD dst_unused:UNUSED_PAD src0_sel:DWORD src1_sel:WORD_1
	v_mul_f16_sdwa v67, v29, v32 dst_sel:DWORD dst_unused:UNUSED_PAD src0_sel:DWORD src1_sel:WORD_1
	s_waitcnt vmcnt(5)
	v_mul_f16_sdwa v68, v60, v34 dst_sel:DWORD dst_unused:UNUSED_PAD src0_sel:DWORD src1_sel:WORD_1
	v_mul_f16_sdwa v69, v30, v34 dst_sel:DWORD dst_unused:UNUSED_PAD src0_sel:DWORD src1_sel:WORD_1
	s_waitcnt vmcnt(4)
	v_mul_f16_sdwa v70, v61, v53 dst_sel:DWORD dst_unused:UNUSED_PAD src0_sel:DWORD src1_sel:WORD_1
	s_waitcnt vmcnt(3)
	;; [unrolled: 2-line block ×4, first 2 shown]
	v_mul_f16_sdwa v76, v64, v56 dst_sel:DWORD dst_unused:UNUSED_PAD src0_sel:DWORD src1_sel:WORD_1
	v_mul_f16_sdwa v71, v49, v53 dst_sel:DWORD dst_unused:UNUSED_PAD src0_sel:DWORD src1_sel:WORD_1
	;; [unrolled: 1-line block ×5, first 2 shown]
	v_fma_f16 v29, v29, v32, -v66
	v_fmac_f16_e32 v67, v59, v32
	v_fma_f16 v30, v30, v34, -v68
	v_fmac_f16_e32 v69, v60, v34
	v_fma_f16 v32, v49, v53, -v70
	v_fma_f16 v34, v50, v54, -v72
	;; [unrolled: 1-line block ×4, first 2 shown]
	s_waitcnt vmcnt(0)
	v_mul_f16_sdwa v51, v65, v57 dst_sel:DWORD dst_unused:UNUSED_PAD src0_sel:DWORD src1_sel:WORD_1
	v_mul_f16_sdwa v52, v58, v57 dst_sel:DWORD dst_unused:UNUSED_PAD src0_sel:DWORD src1_sel:WORD_1
	v_fmac_f16_e32 v71, v61, v53
	v_fmac_f16_e32 v73, v62, v54
	;; [unrolled: 1-line block ×4, first 2 shown]
	v_fma_f16 v51, v58, v57, -v51
	v_fmac_f16_e32 v52, v65, v57
	v_pack_b32_f16 v29, v29, v67
	v_pack_b32_f16 v30, v30, v69
	;; [unrolled: 1-line block ×7, first 2 shown]
	ds_write2_b32 v35, v29, v30 offset0:63 offset1:144
	ds_write2_b32 v31, v32, v34 offset0:97 offset1:178
	;; [unrolled: 1-line block ×3, first 2 shown]
	ds_write_b32 v35, v51 offset:2196
.LBB0_9:
	s_or_b32 exec_lo, exec_lo, s1
	s_waitcnt lgkmcnt(0)
	s_barrier
	buffer_gl0_inv
	ds_read2_b32 v[29:30], v35 offset1:81
	ds_read2_b32 v[31:32], v35 offset0:162 offset1:243
	ds_read2_b32 v[33:34], v33 offset0:68 offset1:149
	ds_read_b32 v49, v35 offset:1944
	s_and_saveexec_b32 s0, vcc_lo
	s_cbranch_execz .LBB0_11
; %bb.10:
	v_add_nc_u32_e32 v13, 0x200, v35
	v_add_nc_u32_e32 v15, 0x400, v35
	ds_read2_b32 v[27:28], v35 offset0:63 offset1:144
	ds_read2_b32 v[13:14], v13 offset0:97 offset1:178
	;; [unrolled: 1-line block ×3, first 2 shown]
	ds_read_b32 v45, v35 offset:2196
.LBB0_11:
	s_or_b32 exec_lo, exec_lo, s0
	s_waitcnt lgkmcnt(0)
	v_pk_add_f16 v50, v30, v49
	v_pk_add_f16 v51, v31, v34
	;; [unrolled: 1-line block ×3, first 2 shown]
	v_pk_add_f16 v30, v30, v49 neg_lo:[0,1] neg_hi:[0,1]
	v_pk_add_f16 v31, v31, v34 neg_lo:[0,1] neg_hi:[0,1]
	;; [unrolled: 1-line block ×3, first 2 shown]
	v_pk_add_f16 v34, v51, v50
	v_pk_add_f16 v33, v51, v50 neg_lo:[0,1] neg_hi:[0,1]
	v_pk_add_f16 v49, v50, v52 neg_lo:[0,1] neg_hi:[0,1]
	;; [unrolled: 1-line block ×4, first 2 shown]
	v_pk_add_f16 v34, v52, v34
	v_pk_add_f16 v53, v32, v31
	v_pk_mul_f16 v49, 0x3a52, v49 op_sel_hi:[0,1]
	v_pk_mul_f16 v33, 0x39e0, v33 op_sel_hi:[0,1]
	;; [unrolled: 1-line block ×3, first 2 shown]
	v_pk_add_f16 v29, v29, v34
	v_pk_add_f16 v31, v32, v31 neg_lo:[0,1] neg_hi:[0,1]
	v_pk_add_f16 v32, v52, v51 neg_lo:[0,1] neg_hi:[0,1]
	v_pk_mul_f16 v51, 0xb574, v54 op_sel_hi:[0,1]
	v_pk_add_f16 v30, v53, v30
	v_pk_add_f16 v53, v49, v33 op_sel:[1,1] op_sel_hi:[0,0] neg_lo:[1,1] neg_hi:[1,1]
	v_pk_fma_f16 v55, 0xb574, v54, v50 op_sel_hi:[0,1,1] neg_lo:[0,1,1] neg_hi:[0,1,1]
	v_pk_fma_f16 v34, 0xbcab, v34, v29 op_sel_hi:[0,1,1]
	v_pk_fma_f16 v50, 0x3846, v31, v50 op_sel_hi:[0,1,1] neg_lo:[0,1,0] neg_hi:[0,1,0]
	v_pk_fma_f16 v33, 0x2b26, v32, v33 op_sel_hi:[0,1,1] neg_lo:[0,1,0] neg_hi:[0,1,0]
	v_pk_fma_f16 v31, 0x3846, v31, v51 op_sel_hi:[0,1,1]
	v_pk_fma_f16 v32, 0x2b26, v32, v49 op_sel_hi:[0,1,1]
	;; [unrolled: 1-line block ×3, first 2 shown]
	v_pk_add_f16 v53, v53, v34 op_sel:[0,1] op_sel_hi:[1,0]
	v_pk_fma_f16 v49, 0xb70e, v30, v50 op_sel_hi:[0,1,1]
	v_pk_add_f16 v33, v33, v34
	v_pk_fma_f16 v30, 0xb70e, v30, v31 op_sel_hi:[0,1,1]
	v_pk_add_f16 v31, v32, v34
	v_pk_add_f16 v50, v53, v52
	v_pk_add_f16 v32, v53, v52 neg_lo:[0,1] neg_hi:[0,1]
	v_pk_add_f16 v34, v33, v49 op_sel:[0,1] op_sel_hi:[1,0] neg_lo:[0,1] neg_hi:[0,1]
	v_pk_add_f16 v33, v33, v49 op_sel:[0,1] op_sel_hi:[1,0]
	v_pk_add_f16 v49, v31, v30 op_sel:[0,1] op_sel_hi:[1,0]
	v_pk_add_f16 v30, v31, v30 op_sel:[0,1] op_sel_hi:[1,0] neg_lo:[0,1] neg_hi:[0,1]
	v_alignbit_b32 v31, v32, v50, 16
	v_alignbit_b32 v32, v50, v32, 16
	v_bfi_b32 v51, 0xffff, v34, v33
	v_bfi_b32 v33, 0xffff, v33, v34
	;; [unrolled: 1-line block ×4, first 2 shown]
	s_barrier
	buffer_gl0_inv
	ds_write2_b32 v47, v31, v51 offset0:2 offset1:3
	ds_write2_b32 v47, v33, v32 offset0:4 offset1:5
	ds_write2_b32 v47, v29, v34 offset1:1
	ds_write_b32 v47, v30 offset:24
	s_and_saveexec_b32 s0, vcc_lo
	s_cbranch_execz .LBB0_13
; %bb.12:
	v_pk_add_f16 v29, v45, v28
	v_pk_add_f16 v30, v14, v15
	v_pk_add_f16 v31, v16, v13
	v_pk_add_f16 v28, v28, v45 neg_lo:[0,1] neg_hi:[0,1]
	v_pk_add_f16 v14, v15, v14 neg_lo:[0,1] neg_hi:[0,1]
	;; [unrolled: 1-line block ×3, first 2 shown]
	v_bfi_b32 v16, 0xffff, v29, v30
	v_bfi_b32 v34, 0xffff, v30, v29
	;; [unrolled: 1-line block ×3, first 2 shown]
	v_alignbit_b32 v32, v28, v14, 16
	v_alignbit_b32 v33, v14, v13, 16
	;; [unrolled: 1-line block ×4, first 2 shown]
	v_pk_add_f16 v15, v31, v29
	v_pk_add_f16 v34, v34, v45 neg_lo:[0,1] neg_hi:[0,1]
	v_pk_add_f16 v32, v32, v33 neg_lo:[0,1] neg_hi:[0,1]
	v_bfi_b32 v33, 0xffff, v30, v31
	v_pk_add_f16 v45, v47, v49 neg_lo:[0,1] neg_hi:[0,1]
	v_pk_add_f16 v14, v14, v13
	v_pk_add_f16 v15, v30, v15
	v_pk_mul_f16 v32, 0xb5743846, v32
	v_pk_add_f16 v16, v16, v33 neg_lo:[0,1] neg_hi:[0,1]
	v_pk_mul_f16 v30, 0x3a522b26, v34
	v_pk_add_f16 v14, v14, v28
	v_pk_add_f16 v27, v27, v15
	v_pk_fma_f16 v33, 0x3846b574, v45, v32
	v_pk_mul_f16 v47, 0x2b263a52, v16
	v_pk_mul_f16 v45, 0x3846b574, v45
	v_pk_fma_f16 v16, 0x2b263a52, v16, v30
	v_pk_add_f16 v29, v31, v29 neg_lo:[0,1] neg_hi:[0,1]
	v_pk_add_f16 v13, v13, v28 neg_lo:[0,1] neg_hi:[0,1]
	v_bfi_b32 v31, 0xffff, v47, v30
	v_alignbit_b32 v28, v45, v32, 16
	v_alignbit_b32 v32, v32, v45, 16
	v_bfi_b32 v30, 0xffff, v30, v47
	v_pk_mul_f16 v34, 0xb70e, v14 op_sel_hi:[0,1]
	v_pk_fma_f16 v15, 0xbcab, v15, v27 op_sel_hi:[0,1,1]
	v_pk_fma_f16 v28, 0xbb00, v13, v28 op_sel_hi:[0,1,1] neg_lo:[0,1,1] neg_hi:[0,1,1]
	v_pk_fma_f16 v31, 0x39e0, v29, v31 op_sel_hi:[0,1,1] neg_lo:[0,1,1] neg_hi:[0,1,1]
	;; [unrolled: 1-line block ×4, first 2 shown]
	v_pk_add_f16 v33, v34, v33 op_sel:[1,0] op_sel_hi:[0,1]
	v_pk_add_f16 v16, v16, v15
	v_pk_fma_f16 v28, 0xb70e, v14, v28 op_sel_hi:[0,1,1]
	v_pk_add_f16 v30, v31, v15
	v_pk_fma_f16 v13, 0xb70e, v14, v13 op_sel_hi:[0,1,1]
	v_pk_add_f16 v14, v29, v15
	v_pk_add_f16 v15, v16, v33
	v_pk_add_f16 v16, v16, v33 neg_lo:[0,1] neg_hi:[0,1]
	v_pk_add_f16 v29, v30, v28 op_sel:[0,1] op_sel_hi:[1,0]
	v_pk_add_f16 v28, v30, v28 op_sel:[0,1] op_sel_hi:[1,0] neg_lo:[0,1] neg_hi:[0,1]
	v_pk_add_f16 v30, v14, v13 op_sel:[0,1] op_sel_hi:[1,0] neg_lo:[0,1] neg_hi:[0,1]
	v_pk_add_f16 v13, v14, v13 op_sel:[0,1] op_sel_hi:[1,0]
	v_lshlrev_b32_e32 v14, 2, v44
	v_bfi_b32 v31, 0xffff, v15, v16
	v_bfi_b32 v32, 0xffff, v29, v28
	;; [unrolled: 1-line block ×6, first 2 shown]
	ds_write2_b32 v14, v27, v31 offset1:1
	ds_write2_b32 v14, v32, v33 offset0:2 offset1:3
	ds_write2_b32 v14, v13, v28 offset0:4 offset1:5
	ds_write_b32 v14, v15 offset:24
.LBB0_13:
	s_or_b32 exec_lo, exec_lo, s0
	s_waitcnt lgkmcnt(0)
	s_barrier
	buffer_gl0_inv
	ds_read2_b32 v[15:16], v35 offset1:63
	ds_read2_b32 v[27:28], v35 offset0:126 offset1:189
	v_add_nc_u32_e32 v13, 0x200, v35
	v_add_nc_u32_e32 v14, 0x400, v35
	ds_read_b32 v33, v35 offset:2016
	ds_read2_b32 v[29:30], v13 offset0:124 offset1:187
	ds_read2_b32 v[31:32], v14 offset0:122 offset1:185
	s_waitcnt lgkmcnt(0)
	s_barrier
	buffer_gl0_inv
	s_mov_b32 s20, 0x8eac7900
	s_mov_b32 s21, 0x3f5ce55c
	v_lshrrev_b32_e32 v44, 16, v16
	v_lshrrev_b32_e32 v45, 16, v27
	;; [unrolled: 1-line block ×3, first 2 shown]
	v_mul_f16_sdwa v50, v4, v16 dst_sel:DWORD dst_unused:UNUSED_PAD src0_sel:WORD_1 src1_sel:DWORD
	v_mul_f16_sdwa v51, v5, v27 dst_sel:DWORD dst_unused:UNUSED_PAD src0_sel:WORD_1 src1_sel:DWORD
	;; [unrolled: 1-line block ×3, first 2 shown]
	v_lshrrev_b32_e32 v53, 16, v29
	v_lshrrev_b32_e32 v54, 16, v30
	v_mul_f16_sdwa v57, v4, v44 dst_sel:DWORD dst_unused:UNUSED_PAD src0_sel:WORD_1 src1_sel:DWORD
	v_fma_f16 v44, v4, v44, -v50
	v_mul_f16_sdwa v50, v5, v45 dst_sel:DWORD dst_unused:UNUSED_PAD src0_sel:WORD_1 src1_sel:DWORD
	v_mul_f16_sdwa v58, v6, v47 dst_sel:DWORD dst_unused:UNUSED_PAD src0_sel:WORD_1 src1_sel:DWORD
	v_lshrrev_b32_e32 v49, 16, v33
	v_lshrrev_b32_e32 v56, 16, v32
	v_fma_f16 v45, v5, v45, -v51
	v_fma_f16 v47, v6, v47, -v52
	v_fmac_f16_e32 v57, v4, v16
	v_fmac_f16_e32 v50, v5, v27
	v_fmac_f16_e32 v58, v6, v28
	v_mul_f16_sdwa v4, v7, v53 dst_sel:DWORD dst_unused:UNUSED_PAD src0_sel:WORD_1 src1_sel:DWORD
	v_mul_f16_sdwa v5, v7, v29 dst_sel:DWORD dst_unused:UNUSED_PAD src0_sel:WORD_1 src1_sel:DWORD
	;; [unrolled: 1-line block ×4, first 2 shown]
	v_lshrrev_b32_e32 v55, 16, v31
	v_fmac_f16_e32 v4, v7, v29
	v_fma_f16 v5, v7, v53, -v5
	v_fmac_f16_e32 v6, v0, v30
	v_fma_f16 v0, v0, v54, -v16
	v_mul_f16_sdwa v7, v3, v49 dst_sel:DWORD dst_unused:UNUSED_PAD src0_sel:WORD_1 src1_sel:DWORD
	v_mul_f16_sdwa v16, v3, v33 dst_sel:DWORD dst_unused:UNUSED_PAD src0_sel:WORD_1 src1_sel:DWORD
	;; [unrolled: 1-line block ×6, first 2 shown]
	v_fmac_f16_e32 v7, v3, v33
	v_fma_f16 v3, v3, v49, -v16
	v_fmac_f16_e32 v28, v2, v32
	v_fma_f16 v2, v2, v56, -v30
	;; [unrolled: 2-line block ×3, first 2 shown]
	v_add_f16_e32 v16, v57, v7
	v_add_f16_e32 v29, v44, v3
	;; [unrolled: 1-line block ×4, first 2 shown]
	v_sub_f16_e32 v7, v57, v7
	v_add_f16_e32 v32, v58, v27
	v_sub_f16_e32 v3, v44, v3
	v_add_f16_e32 v44, v47, v1
	;; [unrolled: 2-line block ×3, first 2 shown]
	v_add_f16_e32 v59, v31, v29
	v_sub_f16_e32 v28, v50, v28
	v_mul_f16_e32 v33, 0x3924, v7
	v_sub_f16_e32 v51, v5, v0
	v_add_f16_e32 v62, v32, v58
	v_add_f16_e32 v63, v44, v59
	v_sub_f16_e32 v50, v4, v6
	v_fmac_f16_e32 v33, 0x3be1, v28
	v_add_f16_e32 v52, v4, v6
	v_add_f16_e32 v53, v5, v0
	v_mul_f16_e32 v54, 0xb924, v51
	v_add_f16_e32 v4, v4, v62
	v_add_f16_e32 v5, v5, v63
	v_lshrrev_b32_e32 v34, 16, v15
	v_sub_f16_e32 v1, v47, v1
	v_fmac_f16_e32 v33, 0x3aee, v27
	v_fmac_f16_e32 v54, 0x3be1, v3
	v_add_f16_e32 v4, v6, v4
	v_add_f16_e32 v0, v0, v5
	v_fmamk_f16 v55, v52, 0x3a21, v15
	v_sub_f16_e32 v2, v45, v2
	v_mul_f16_e32 v45, 0x3924, v3
	v_fmamk_f16 v47, v16, 0x3a21, v15
	v_fmamk_f16 v49, v29, 0x3a21, v34
	v_fmac_f16_e32 v33, 0x3579, v50
	v_mul_f16_e32 v56, 0xb924, v50
	v_fmamk_f16 v57, v53, 0x3a21, v34
	v_fmac_f16_e32 v54, 0xbaee, v1
	v_add_f16_e32 v60, v50, v7
	v_add_f16_e32 v61, v51, v3
	;; [unrolled: 1-line block ×4, first 2 shown]
	v_mul_f16_e32 v6, 0x3be1, v50
	v_mul_f16_e32 v50, 0x3be1, v51
	v_add_f16_e32 v4, v4, v15
	v_add_f16_e32 v0, v0, v34
	v_fmac_f16_e32 v15, 0x3a21, v30
	v_fmac_f16_e32 v34, 0x3a21, v31
	;; [unrolled: 1-line block ×5, first 2 shown]
	v_sub_f16_e32 v61, v61, v2
	v_fma_f16 v6, v28, 0xb924, -v6
	v_fma_f16 v2, v2, 0xb924, -v50
	v_fmac_f16_e32 v15, 0x318f, v52
	v_fmac_f16_e32 v34, 0x318f, v53
	;; [unrolled: 1-line block ×4, first 2 shown]
	v_fmac_f16_e32 v55, -0.5, v32
	v_fmac_f16_e32 v47, 0x318f, v30
	v_fmac_f16_e32 v49, 0x318f, v31
	;; [unrolled: 1-line block ×4, first 2 shown]
	v_fmac_f16_e32 v15, -0.5, v32
	v_fmac_f16_e32 v34, -0.5, v44
	v_fmac_f16_e32 v56, 0xbaee, v27
	v_fmac_f16_e32 v57, -0.5, v44
	v_fmac_f16_e32 v55, 0xbb84, v30
	v_add_f16_e32 v5, v52, v58
	v_add_f16_e32 v30, v53, v59
	v_fmac_f16_e32 v45, 0x3aee, v1
	v_fmac_f16_e32 v47, -0.5, v32
	v_fmac_f16_e32 v49, -0.5, v44
	v_fmac_f16_e32 v6, 0x3579, v7
	v_fmac_f16_e32 v2, 0x3579, v3
	;; [unrolled: 1-line block ×6, first 2 shown]
	v_sub_f16_e32 v60, v60, v28
	v_fmac_f16_e32 v63, -0.5, v5
	v_fmac_f16_e32 v64, -0.5, v30
	v_fmac_f16_e32 v45, 0x3579, v51
	v_fmac_f16_e32 v47, 0xbb84, v52
	;; [unrolled: 1-line block ×3, first 2 shown]
	v_sub_f16_e32 v3, v15, v2
	v_add_f16_e32 v5, v6, v34
	v_sub_f16_e32 v55, v55, v54
	v_add_f16_e32 v57, v56, v57
	v_mul_f16_e32 v62, 0x3aee, v60
	v_mul_f16_e32 v1, 0x3aee, v61
	v_fmac_f16_e32 v63, 0xbaee, v61
	v_fmac_f16_e32 v64, 0x3aee, v60
	v_sub_f16_e32 v47, v47, v45
	v_add_f16_e32 v49, v33, v49
	v_fma_f16 v2, 2.0, v2, v3
	v_fma_f16 v6, -2.0, v6, v5
	v_fma_f16 v54, 2.0, v54, v55
	v_fma_f16 v7, -2.0, v56, v57
	;; [unrolled: 2-line block ×4, first 2 shown]
	v_pack_b32_f16 v0, v4, v0
	v_pack_b32_f16 v4, v47, v49
	;; [unrolled: 1-line block ×9, first 2 shown]
	ds_write2_b32 v46, v0, v4 offset1:7
	ds_write2_b32 v46, v16, v27 offset0:14 offset1:21
	ds_write2_b32 v46, v3, v2 offset0:28 offset1:35
	;; [unrolled: 1-line block ×3, first 2 shown]
	ds_write_b32 v46, v6 offset:224
	s_waitcnt lgkmcnt(0)
	s_barrier
	buffer_gl0_inv
	ds_read2_b32 v[0:1], v35 offset1:63
	ds_read2_b32 v[2:3], v35 offset0:126 offset1:189
	ds_read2_b32 v[4:5], v14 offset0:122 offset1:185
	;; [unrolled: 1-line block ×3, first 2 shown]
	ds_read_b32 v15, v35 offset:2016
	s_waitcnt lgkmcnt(0)
	s_barrier
	buffer_gl0_inv
	v_lshrrev_b32_e32 v16, 16, v0
	v_lshrrev_b32_e32 v27, 16, v3
	;; [unrolled: 1-line block ×4, first 2 shown]
	v_mul_f16_sdwa v44, v19, v3 dst_sel:DWORD dst_unused:UNUSED_PAD src0_sel:WORD_1 src1_sel:DWORD
	v_lshrrev_b32_e32 v31, 16, v5
	v_mul_f16_sdwa v33, v19, v27 dst_sel:DWORD dst_unused:UNUSED_PAD src0_sel:WORD_1 src1_sel:DWORD
	v_mul_f16_sdwa v46, v20, v28 dst_sel:DWORD dst_unused:UNUSED_PAD src0_sel:WORD_1 src1_sel:DWORD
	v_lshrrev_b32_e32 v34, 16, v7
	v_fma_f16 v27, v19, v27, -v44
	v_mul_f16_sdwa v44, v19, v30 dst_sel:DWORD dst_unused:UNUSED_PAD src0_sel:WORD_1 src1_sel:DWORD
	v_fmac_f16_e32 v33, v19, v3
	v_mul_f16_sdwa v3, v20, v4 dst_sel:DWORD dst_unused:UNUSED_PAD src0_sel:WORD_1 src1_sel:DWORD
	v_fmac_f16_e32 v46, v20, v4
	v_mul_f16_sdwa v4, v19, v6 dst_sel:DWORD dst_unused:UNUSED_PAD src0_sel:WORD_1 src1_sel:DWORD
	v_lshrrev_b32_e32 v45, 16, v15
	v_fmac_f16_e32 v44, v19, v6
	v_fma_f16 v3, v20, v28, -v3
	v_mul_f16_sdwa v28, v20, v31 dst_sel:DWORD dst_unused:UNUSED_PAD src0_sel:WORD_1 src1_sel:DWORD
	v_mul_f16_sdwa v6, v20, v5 dst_sel:DWORD dst_unused:UNUSED_PAD src0_sel:WORD_1 src1_sel:DWORD
	v_fma_f16 v4, v19, v30, -v4
	v_mul_f16_sdwa v19, v17, v34 dst_sel:DWORD dst_unused:UNUSED_PAD src0_sel:WORD_1 src1_sel:DWORD
	v_lshrrev_b32_e32 v29, 16, v1
	v_fmac_f16_e32 v28, v20, v5
	v_mul_f16_sdwa v5, v17, v7 dst_sel:DWORD dst_unused:UNUSED_PAD src0_sel:WORD_1 src1_sel:DWORD
	v_fma_f16 v6, v20, v31, -v6
	v_mul_f16_sdwa v20, v18, v45 dst_sel:DWORD dst_unused:UNUSED_PAD src0_sel:WORD_1 src1_sel:DWORD
	v_fmac_f16_e32 v19, v17, v7
	v_mul_f16_sdwa v7, v18, v15 dst_sel:DWORD dst_unused:UNUSED_PAD src0_sel:WORD_1 src1_sel:DWORD
	v_fma_f16 v5, v17, v34, -v5
	v_add_f16_e32 v17, v33, v46
	v_fmac_f16_e32 v20, v18, v15
	v_add_f16_e32 v15, v0, v33
	v_fma_f16 v7, v18, v45, -v7
	v_add_f16_e32 v18, v27, v3
	v_fma_f16 v0, -0.5, v17, v0
	v_sub_f16_e32 v17, v27, v3
	v_add_f16_e32 v27, v16, v27
	v_add_f16_e32 v31, v1, v44
	v_fmac_f16_e32 v16, -0.5, v18
	v_sub_f16_e32 v18, v33, v46
	v_fmamk_f16 v30, v17, 0xbaee, v0
	v_fmac_f16_e32 v0, 0x3aee, v17
	v_add_f16_e32 v3, v27, v3
	v_add_f16_e32 v17, v44, v28
	v_fmamk_f16 v27, v18, 0x3aee, v16
	v_fmac_f16_e32 v16, 0xbaee, v18
	v_add_f16_e32 v18, v4, v6
	v_lshrrev_b32_e32 v32, 16, v2
	v_fmac_f16_e32 v1, -0.5, v17
	v_sub_f16_e32 v17, v4, v6
	v_add_f16_e32 v4, v29, v4
	v_fmac_f16_e32 v29, -0.5, v18
	v_sub_f16_e32 v18, v44, v28
	v_add_f16_e32 v31, v31, v28
	v_fmamk_f16 v28, v17, 0xbaee, v1
	v_fmac_f16_e32 v1, 0x3aee, v17
	v_add_f16_e32 v4, v4, v6
	v_add_f16_e32 v6, v19, v20
	v_fmamk_f16 v17, v18, 0x3aee, v29
	v_fmac_f16_e32 v29, 0xbaee, v18
	v_add_f16_e32 v18, v5, v7
	v_add_f16_e32 v33, v2, v19
	v_fmac_f16_e32 v2, -0.5, v6
	v_sub_f16_e32 v6, v5, v7
	v_add_f16_e32 v5, v32, v5
	v_fmac_f16_e32 v32, -0.5, v18
	v_sub_f16_e32 v18, v19, v20
	v_add_f16_e32 v15, v15, v46
	v_add_f16_e32 v19, v33, v20
	v_fmamk_f16 v20, v6, 0xbaee, v2
	v_fmac_f16_e32 v2, 0x3aee, v6
	v_add_f16_e32 v5, v5, v7
	v_fmamk_f16 v6, v18, 0x3aee, v32
	v_fmac_f16_e32 v32, 0xbaee, v18
	v_pack_b32_f16 v3, v15, v3
	v_pack_b32_f16 v7, v30, v27
	;; [unrolled: 1-line block ×8, first 2 shown]
	v_add_nc_u32_e32 v16, 0x400, v48
	v_pack_b32_f16 v2, v2, v32
	ds_write2_b32 v35, v3, v7 offset1:63
	ds_write2_b32 v35, v0, v4 offset0:126 offset1:189
	ds_write2_b32 v13, v15, v1 offset0:124 offset1:187
	;; [unrolled: 1-line block ×3, first 2 shown]
	ds_write_b32 v48, v2 offset:2016
	s_waitcnt lgkmcnt(0)
	s_barrier
	buffer_gl0_inv
	ds_read2_b32 v[0:1], v35 offset1:63
	ds_read2_b32 v[2:3], v35 offset0:126 offset1:189
	ds_read2_b32 v[4:5], v14 offset0:122 offset1:185
	;; [unrolled: 1-line block ×3, first 2 shown]
	ds_read_b32 v15, v35 offset:2016
	s_waitcnt lgkmcnt(4)
	v_lshrrev_b32_e32 v16, 16, v0
	s_waitcnt lgkmcnt(3)
	v_lshrrev_b32_e32 v17, 16, v3
	;; [unrolled: 2-line block ×4, first 2 shown]
	v_lshrrev_b32_e32 v27, 16, v5
	v_mul_f16_sdwa v31, v25, v3 dst_sel:DWORD dst_unused:UNUSED_PAD src0_sel:WORD_1 src1_sel:DWORD
	v_mul_f16_sdwa v29, v25, v17 dst_sel:DWORD dst_unused:UNUSED_PAD src0_sel:WORD_1 src1_sel:DWORD
	;; [unrolled: 1-line block ×3, first 2 shown]
	v_lshrrev_b32_e32 v30, 16, v7
	s_waitcnt lgkmcnt(0)
	v_lshrrev_b32_e32 v32, 16, v15
	v_fma_f16 v17, v25, v17, -v31
	v_fmac_f16_e32 v29, v25, v3
	v_mul_f16_sdwa v3, v26, v4 dst_sel:DWORD dst_unused:UNUSED_PAD src0_sel:WORD_1 src1_sel:DWORD
	v_mul_f16_sdwa v25, v23, v20 dst_sel:DWORD dst_unused:UNUSED_PAD src0_sel:WORD_1 src1_sel:DWORD
	v_fmac_f16_e32 v33, v26, v4
	v_mul_f16_sdwa v4, v23, v6 dst_sel:DWORD dst_unused:UNUSED_PAD src0_sel:WORD_1 src1_sel:DWORD
	v_lshrrev_b32_e32 v19, 16, v1
	v_fma_f16 v3, v26, v18, -v3
	v_mul_f16_sdwa v18, v24, v27 dst_sel:DWORD dst_unused:UNUSED_PAD src0_sel:WORD_1 src1_sel:DWORD
	v_fmac_f16_e32 v25, v23, v6
	v_mul_f16_sdwa v6, v24, v5 dst_sel:DWORD dst_unused:UNUSED_PAD src0_sel:WORD_1 src1_sel:DWORD
	v_fma_f16 v4, v23, v20, -v4
	v_mul_f16_sdwa v20, v21, v30 dst_sel:DWORD dst_unused:UNUSED_PAD src0_sel:WORD_1 src1_sel:DWORD
	v_fmac_f16_e32 v18, v24, v5
	v_mul_f16_sdwa v5, v21, v7 dst_sel:DWORD dst_unused:UNUSED_PAD src0_sel:WORD_1 src1_sel:DWORD
	v_mul_f16_sdwa v23, v22, v32 dst_sel:DWORD dst_unused:UNUSED_PAD src0_sel:WORD_1 src1_sel:DWORD
	v_fma_f16 v6, v24, v27, -v6
	v_fmac_f16_e32 v20, v21, v7
	v_mul_f16_sdwa v7, v22, v15 dst_sel:DWORD dst_unused:UNUSED_PAD src0_sel:WORD_1 src1_sel:DWORD
	v_fma_f16 v5, v21, v30, -v5
	v_add_f16_e32 v21, v29, v33
	v_fmac_f16_e32 v23, v22, v15
	v_add_f16_e32 v15, v0, v29
	v_fma_f16 v7, v22, v32, -v7
	v_add_f16_e32 v22, v17, v3
	v_fma_f16 v0, -0.5, v21, v0
	v_sub_f16_e32 v21, v17, v3
	v_add_f16_e32 v17, v16, v17
	v_add_f16_e32 v26, v1, v25
	v_fmac_f16_e32 v16, -0.5, v22
	v_sub_f16_e32 v22, v29, v33
	v_lshrrev_b32_e32 v28, 16, v2
	v_add_f16_e32 v3, v17, v3
	v_add_f16_e32 v17, v25, v18
	v_fmamk_f16 v24, v21, 0xbaee, v0
	v_fmac_f16_e32 v0, 0x3aee, v21
	v_fmamk_f16 v21, v22, 0x3aee, v16
	v_fmac_f16_e32 v16, 0xbaee, v22
	v_add_f16_e32 v22, v4, v6
	v_fmac_f16_e32 v1, -0.5, v17
	v_sub_f16_e32 v17, v4, v6
	v_add_f16_e32 v26, v26, v18
	v_sub_f16_e32 v18, v25, v18
	v_add_f16_e32 v25, v20, v23
	v_add_f16_e32 v27, v5, v7
	;; [unrolled: 1-line block ×3, first 2 shown]
	v_fmac_f16_e32 v19, -0.5, v22
	v_fmamk_f16 v22, v17, 0xbaee, v1
	v_fmac_f16_e32 v1, 0x3aee, v17
	v_add_f16_e32 v17, v2, v20
	v_fmac_f16_e32 v2, -0.5, v25
	v_sub_f16_e32 v25, v5, v7
	v_add_f16_e32 v5, v28, v5
	v_fmac_f16_e32 v28, -0.5, v27
	v_sub_f16_e32 v20, v20, v23
	v_add_f16_e32 v15, v15, v33
	v_add_f16_e32 v4, v4, v6
	;; [unrolled: 1-line block ×3, first 2 shown]
	v_pack_b32_f16 v7, v24, v21
	v_fmamk_f16 v6, v18, 0x3aee, v19
	v_fmac_f16_e32 v19, 0xbaee, v18
	v_pack_b32_f16 v0, v0, v16
	v_add_f16_e32 v17, v17, v23
	v_fmamk_f16 v18, v25, 0xbaee, v2
	v_fmamk_f16 v16, v20, 0x3aee, v28
	v_fmac_f16_e32 v2, 0x3aee, v25
	v_fmac_f16_e32 v28, 0xbaee, v20
	v_pack_b32_f16 v3, v15, v3
	ds_write_b32 v35, v7 offset:756
	ds_write_b32 v35, v0 offset:1512
	v_pack_b32_f16 v0, v26, v4
	v_pack_b32_f16 v1, v1, v19
	;; [unrolled: 1-line block ×6, first 2 shown]
	ds_write2_b32 v35, v3, v0 offset1:63
	ds_write_b32 v35, v1 offset:1764
	ds_write_b32 v35, v5 offset:504
	ds_write2_b32 v13, v4, v6 offset0:124 offset1:187
	ds_write_b32 v35, v2 offset:2016
	s_waitcnt lgkmcnt(0)
	s_barrier
	buffer_gl0_inv
	ds_read2_b32 v[0:1], v35 offset1:81
	s_waitcnt lgkmcnt(0)
	v_lshrrev_b32_e32 v4, 16, v0
	v_lshrrev_b32_e32 v18, 16, v1
	v_mul_f16_sdwa v2, v43, v4 dst_sel:DWORD dst_unused:UNUSED_PAD src0_sel:WORD_1 src1_sel:DWORD
	v_fmac_f16_e32 v2, v43, v0
	v_mul_f16_sdwa v0, v43, v0 dst_sel:DWORD dst_unused:UNUSED_PAD src0_sel:WORD_1 src1_sel:DWORD
	v_cvt_f32_f16_e32 v2, v2
	v_fma_f16 v0, v43, v4, -v0
	v_cvt_f64_f32_e32 v[2:3], v2
	v_cvt_f32_f16_e32 v0, v0
	v_cvt_f64_f32_e32 v[4:5], v0
	v_mul_f64 v[2:3], v[2:3], s[20:21]
	v_mul_f64 v[4:5], v[4:5], s[20:21]
	v_and_or_b32 v0, 0x1ff, v3, v2
	v_lshrrev_b32_e32 v2, 8, v3
	v_bfe_u32 v6, v3, 20, 11
	v_cmp_ne_u32_e64 s0, 0, v0
	v_and_or_b32 v4, 0x1ff, v5, v4
	v_lshrrev_b32_e32 v16, 8, v5
	v_bfe_u32 v17, v5, 20, 11
	v_add_nc_u32_e32 v19, 0xfffffc10, v6
	v_cndmask_b32_e64 v0, 0, 1, s0
	v_cmp_ne_u32_e64 s0, 0, v4
	v_lshrrev_b32_e32 v5, 16, v5
	v_add_nc_u32_e32 v23, 0xfffffc10, v17
	v_and_or_b32 v0, 0xffe, v2, v0
	v_sub_nc_u32_e32 v2, 0x3f1, v6
	v_cndmask_b32_e64 v4, 0, 1, s0
	v_mul_f16_sdwa v6, v42, v18 dst_sel:DWORD dst_unused:UNUSED_PAD src0_sel:WORD_1 src1_sel:DWORD
	v_cmp_gt_i32_e64 s2, 1, v23
	v_or_b32_e32 v7, 0x1000, v0
	v_med3_i32 v2, v2, 0, 13
	v_and_or_b32 v4, 0xffe, v16, v4
	v_sub_nc_u32_e32 v16, 0x3f1, v17
	v_fmac_f16_e32 v6, v42, v1
	v_mul_f16_sdwa v1, v42, v1 dst_sel:DWORD dst_unused:UNUSED_PAD src0_sel:WORD_1 src1_sel:DWORD
	v_lshrrev_b32_e32 v15, v2, v7
	v_or_b32_e32 v20, 0x1000, v4
	v_cvt_f32_f16_e32 v6, v6
	v_fma_f16 v1, v42, v18, -v1
	v_lshlrev_b32_e32 v2, v2, v15
	v_cmp_ne_u32_e64 s0, v2, v7
	v_med3_i32 v7, v16, 0, 13
	v_cndmask_b32_e64 v2, 0, 1, s0
	v_lshrrev_b32_e32 v21, v7, v20
	v_cmp_gt_i32_e64 s0, 1, v19
	v_or_b32_e32 v2, v15, v2
	v_lshl_or_b32 v15, v19, 12, v0
	v_cndmask_b32_e64 v2, v15, v2, s0
	v_lshlrev_b32_e32 v15, v7, v21
	v_cvt_f64_f32_e32 v[6:7], v6
	v_and_b32_e32 v22, 7, v2
	v_cmp_ne_u32_e64 s0, v15, v20
	v_lshrrev_b32_e32 v2, 2, v2
	v_mad_u64_u32 v[15:16], null, s10, v12, 0
	v_cmp_eq_u32_e64 s1, 3, v22
	v_cndmask_b32_e64 v20, 0, 1, s0
	v_cmp_lt_i32_e64 s0, 5, v22
	v_or_b32_e32 v17, v21, v20
	v_lshl_or_b32 v20, v23, 12, v4
	s_or_b32 s0, s1, s0
	v_add_co_ci_u32_e64 v18, s0, 0, v2, s0
	v_cvt_f32_f16_e32 v2, v1
	v_cndmask_b32_e64 v17, v20, v17, s2
	v_cmp_ne_u32_e64 s0, 0, v0
	v_mul_f64 v[0:1], v[6:7], s[20:21]
	v_cmp_eq_u32_e64 s2, 0x40f, v19
	v_cvt_f64_f32_e32 v[6:7], v2
	v_and_b32_e32 v21, 7, v17
	v_cndmask_b32_e64 v20, 0, 1, s0
	v_cmp_gt_i32_e64 s0, 31, v19
	v_mov_b32_e32 v2, v16
	v_lshrrev_b32_e32 v17, 2, v17
	v_cmp_eq_u32_e64 s1, 3, v21
	v_cndmask_b32_e64 v16, 0x7c00, v18, s0
	v_cmp_lt_i32_e64 s0, 5, v21
	v_lshl_or_b32 v18, v20, 9, 0x7c00
	s_or_b32 s0, s1, s0
	v_cndmask_b32_e64 v16, v16, v18, s2
	v_add_co_ci_u32_e64 v17, s0, 0, v17, s0
	v_lshrrev_b32_e32 v18, 16, v3
	v_cmp_gt_i32_e64 s0, 31, v23
	v_mad_u64_u32 v[2:3], null, s11, v12, v[2:3]
	v_and_or_b32 v0, 0x1ff, v1, v0
	v_and_or_b32 v12, 0x8000, v18, v16
	v_cndmask_b32_e64 v16, 0x7c00, v17, s0
	v_cmp_ne_u32_e64 s0, 0, v4
	v_mul_f64 v[3:4], v[6:7], s[20:21]
	ds_read2_b32 v[6:7], v35 offset0:162 offset1:243
	v_mad_u64_u32 v[17:18], null, s8, v41, 0
	v_cndmask_b32_e64 v19, 0, 1, s0
	v_cmp_ne_u32_e64 s0, 0, v0
	v_lshrrev_b32_e32 v21, 8, v1
	v_bfe_u32 v22, v1, 20, 11
	v_lshl_or_b32 v19, v19, 9, 0x7c00
	v_cndmask_b32_e64 v20, 0, 1, s0
	v_cmp_eq_u32_e64 s0, 0x40f, v23
	v_mov_b32_e32 v0, v18
	v_and_or_b32 v20, 0xffe, v21, v20
	v_cndmask_b32_e64 v23, v16, v19, s0
	v_sub_nc_u32_e32 v16, 0x3f1, v22
	v_mad_u64_u32 v[18:19], null, s9, v41, v[0:1]
	v_or_b32_e32 v0, 0x1000, v20
	v_add_nc_u32_e32 v22, 0xfffffc10, v22
	v_med3_i32 v19, v16, 0, 13
	v_mov_b32_e32 v16, v2
	v_and_or_b32 v2, 0x8000, v5, v23
	v_and_b32_e32 v5, 0xffff, v12
	s_waitcnt lgkmcnt(0)
	v_lshrrev_b32_e32 v12, 16, v6
	v_lshrrev_b32_e32 v21, v19, v0
	v_and_or_b32 v3, 0x1ff, v4, v3
	v_bfe_u32 v24, v4, 20, 11
	v_lshl_or_b32 v23, v2, 16, v5
	v_mul_f16_sdwa v2, v40, v12 dst_sel:DWORD dst_unused:UNUSED_PAD src0_sel:WORD_1 src1_sel:DWORD
	v_lshlrev_b32_e32 v5, v19, v21
	v_cmp_ne_u32_e64 s0, 0, v3
	v_lshrrev_b32_e32 v19, 8, v4
	v_lshlrev_b64 v[15:16], 2, v[15:16]
	v_fmac_f16_e32 v2, v40, v6
	v_lshlrev_b64 v[17:18], 2, v[17:18]
	v_cndmask_b32_e64 v3, 0, 1, s0
	v_cmp_ne_u32_e64 s0, v5, v0
	v_sub_nc_u32_e32 v5, 0x3f1, v24
	v_cvt_f32_f16_e32 v2, v2
	v_mul_f16_sdwa v6, v40, v6 dst_sel:DWORD dst_unused:UNUSED_PAD src0_sel:WORD_1 src1_sel:DWORD
	v_and_or_b32 v19, 0xffe, v19, v3
	v_cndmask_b32_e64 v0, 0, 1, s0
	v_med3_i32 v5, v5, 0, 13
	v_cvt_f64_f32_e32 v[2:3], v2
	v_cmp_gt_i32_e64 s0, 1, v22
	v_or_b32_e32 v25, 0x1000, v19
	v_or_b32_e32 v0, v21, v0
	v_lshl_or_b32 v21, v22, 12, v20
	v_fma_f16 v6, v40, v12, -v6
	v_lshrrev_b32_e32 v1, 16, v1
	v_lshrrev_b32_e32 v4, 16, v4
	v_cndmask_b32_e64 v0, v21, v0, s0
	v_lshrrev_b32_e32 v21, v5, v25
	v_add_co_u32 v15, s0, s6, v15
	v_add_co_ci_u32_e64 v16, s0, s7, v16, s0
	v_lshlrev_b32_e32 v5, v5, v21
	v_add_co_u32 v15, s0, v15, v17
	v_add_co_ci_u32_e64 v16, s0, v16, v18, s0
	v_cmp_ne_u32_e64 s0, v5, v25
	v_and_b32_e32 v26, 7, v0
	v_add_nc_u32_e32 v17, 0xfffffc10, v24
	v_mul_f64 v[2:3], v[2:3], s[20:21]
	v_lshrrev_b32_e32 v0, 2, v0
	v_cndmask_b32_e64 v5, 0, 1, s0
	v_cmp_lt_i32_e64 s0, 5, v26
	v_cmp_eq_u32_e64 s1, 3, v26
	v_lshl_or_b32 v18, v17, 12, v19
	v_cmp_gt_i32_e64 s2, 1, v17
	v_or_b32_e32 v5, v21, v5
	global_store_dword v[15:16], v23, off
	s_or_b32 s0, s1, s0
	v_add_co_ci_u32_e64 v0, s0, 0, v0, s0
	v_cndmask_b32_e64 v12, v18, v5, s2
	v_cmp_ne_u32_e64 s0, 0, v20
	v_cvt_f32_f16_e32 v5, v6
	v_cmp_eq_u32_e64 s2, 0x40f, v22
	v_and_b32_e32 v20, 7, v12
	v_cndmask_b32_e64 v18, 0, 1, s0
	v_cmp_gt_i32_e64 s0, 31, v22
	v_cvt_f64_f32_e32 v[5:6], v5
	v_lshrrev_b32_e32 v12, 2, v12
	v_cmp_eq_u32_e64 s1, 3, v20
	v_and_or_b32 v2, 0x1ff, v3, v2
	v_cndmask_b32_e64 v0, 0x7c00, v0, s0
	v_cmp_lt_i32_e64 s0, 5, v20
	v_lshl_or_b32 v18, v18, 9, 0x7c00
	v_bfe_u32 v20, v3, 20, 11
	s_or_b32 s0, s1, s0
	v_cndmask_b32_e64 v0, v0, v18, s2
	v_add_co_ci_u32_e64 v12, s0, 0, v12, s0
	v_cmp_ne_u32_e64 s0, 0, v2
	v_lshrrev_b32_e32 v18, 8, v3
	v_sub_nc_u32_e32 v21, 0x3f1, v20
	v_add_nc_u32_e32 v20, 0xfffffc10, v20
	s_mul_i32 s1, s9, 0x51
	v_cndmask_b32_e64 v2, 0, 1, s0
	v_cmp_gt_i32_e64 s0, 31, v17
	v_med3_i32 v21, v21, 0, 13
	v_mul_f64 v[5:6], v[5:6], s[20:21]
	s_mul_hi_u32 s2, s8, 0x51
	v_and_or_b32 v2, 0xffe, v18, v2
	v_cndmask_b32_e64 v12, 0x7c00, v12, s0
	v_cmp_ne_u32_e64 s0, 0, v19
	v_lshrrev_b32_e32 v18, 16, v7
	s_add_i32 s3, s2, s1
	v_or_b32_e32 v22, 0x1000, v2
	s_mul_i32 s2, s8, 0x51
	v_cndmask_b32_e64 v19, 0, 1, s0
	v_mul_f16_sdwa v24, v39, v18 dst_sel:DWORD dst_unused:UNUSED_PAD src0_sel:WORD_1 src1_sel:DWORD
	v_cmp_eq_u32_e64 s0, 0x40f, v17
	v_lshrrev_b32_e32 v17, v21, v22
	s_lshl_b64 s[22:23], s[2:3], 2
	v_lshl_or_b32 v19, v19, 9, 0x7c00
	v_fmac_f16_e32 v24, v39, v7
	v_mul_f16_sdwa v7, v39, v7 dst_sel:DWORD dst_unused:UNUSED_PAD src0_sel:WORD_1 src1_sel:DWORD
	v_lshlrev_b32_e32 v21, v21, v17
	v_cndmask_b32_e64 v12, v12, v19, s0
	v_and_or_b32 v19, 0x8000, v1, v0
	v_cvt_f32_f16_e32 v0, v24
	v_cmp_ne_u32_e64 s0, v21, v22
	v_and_or_b32 v5, 0x1ff, v6, v5
	v_and_or_b32 v4, 0x8000, v4, v12
	v_lshrrev_b32_e32 v21, 8, v6
	v_cvt_f64_f32_e32 v[0:1], v0
	v_cndmask_b32_e64 v12, 0, 1, s0
	v_cmp_ne_u32_e64 s0, 0, v5
	v_and_b32_e32 v19, 0xffff, v19
	v_bfe_u32 v22, v6, 20, 11
	v_fma_f16 v7, v39, v18, -v7
	v_or_b32_e32 v12, v17, v12
	v_lshl_or_b32 v17, v20, 12, v2
	v_cndmask_b32_e64 v5, 0, 1, s0
	v_cmp_gt_i32_e64 s0, 1, v20
	v_cvt_f32_f16_e32 v7, v7
	v_lshrrev_b32_e32 v6, 16, v6
	v_and_or_b32 v21, 0xffe, v21, v5
	v_cndmask_b32_e64 v12, v17, v12, s0
	v_lshl_or_b32 v17, v4, 16, v19
	v_sub_nc_u32_e32 v4, 0x3f1, v22
	v_add_nc_u32_e32 v22, 0xfffffc10, v22
	v_or_b32_e32 v23, 0x1000, v21
	v_and_b32_e32 v19, 7, v12
	v_lshrrev_b32_e32 v12, 2, v12
	v_med3_i32 v24, v4, 0, 13
	v_mul_f64 v[0:1], v[0:1], s[20:21]
	v_add_co_u32 v4, s0, v15, s22
	v_add_co_ci_u32_e64 v5, s0, s23, v16, s0
	v_lshrrev_b32_e32 v25, v24, v23
	v_cmp_lt_i32_e64 s0, 5, v19
	v_cmp_eq_u32_e64 s1, 3, v19
	global_store_dword v[4:5], v17, off
	ds_read2_b32 v[15:16], v14 offset0:68 offset1:149
	v_lshlrev_b32_e32 v17, v24, v25
	s_or_b32 s0, s1, s0
	v_add_co_ci_u32_e64 v12, s0, 0, v12, s0
	v_cmp_ne_u32_e64 s0, v17, v23
	v_cvt_f64_f32_e32 v[17:18], v7
	v_cndmask_b32_e64 v19, 0, 1, s0
	v_and_or_b32 v0, 0x1ff, v1, v0
	v_cmp_gt_i32_e64 s0, 31, v20
	v_lshrrev_b32_e32 v23, 8, v1
	v_bfe_u32 v24, v1, 20, 11
	v_or_b32_e32 v7, v25, v19
	v_lshl_or_b32 v19, v22, 12, v21
	v_cndmask_b32_e64 v12, 0x7c00, v12, s0
	v_cmp_ne_u32_e64 s0, 0, v0
	v_cndmask_b32_e64 v0, 0, 1, s0
	v_cmp_ne_u32_e64 s0, 0, v2
	v_and_or_b32 v0, 0xffe, v23, v0
	v_cndmask_b32_e64 v2, 0, 1, s0
	v_cmp_gt_i32_e64 s0, 1, v22
	s_waitcnt lgkmcnt(0)
	v_lshrrev_b32_e32 v23, 16, v15
	v_mul_f64 v[17:18], v[17:18], s[20:21]
	v_or_b32_e32 v26, 0x1000, v0
	v_lshl_or_b32 v2, v2, 9, 0x7c00
	v_cndmask_b32_e64 v7, v19, v7, s0
	v_sub_nc_u32_e32 v19, 0x3f1, v24
	v_cmp_eq_u32_e64 s0, 0x40f, v20
	v_mul_f16_sdwa v27, v38, v23 dst_sel:DWORD dst_unused:UNUSED_PAD src0_sel:WORD_1 src1_sel:DWORD
	v_add_nc_u32_e32 v24, 0xfffffc10, v24
	v_and_b32_e32 v25, 7, v7
	v_med3_i32 v19, v19, 0, 13
	v_cndmask_b32_e64 v12, v12, v2, s0
	v_lshrrev_b32_e32 v2, 2, v7
	v_fmac_f16_e32 v27, v38, v15
	v_cmp_lt_i32_e64 s0, 5, v25
	v_cmp_eq_u32_e64 s1, 3, v25
	v_lshrrev_b32_e32 v20, v19, v26
	v_lshrrev_b32_e32 v25, 16, v3
	v_cvt_f32_f16_e32 v3, v27
	v_mul_f16_sdwa v15, v38, v15 dst_sel:DWORD dst_unused:UNUSED_PAD src0_sel:WORD_1 src1_sel:DWORD
	s_or_b32 s0, s1, s0
	v_lshlrev_b32_e32 v7, v19, v20
	v_add_co_ci_u32_e64 v19, s0, 0, v2, s0
	v_cmp_ne_u32_e64 s0, 0, v21
	v_cvt_f64_f32_e32 v[2:3], v3
	v_and_or_b32 v17, 0x1ff, v18, v17
	v_and_or_b32 v12, 0x8000, v25, v12
	v_fma_f16 v15, v38, v23, -v15
	v_cndmask_b32_e64 v21, 0, 1, s0
	v_cmp_ne_u32_e64 s0, v7, v26
	v_lshrrev_b32_e32 v27, 16, v16
	v_and_b32_e32 v12, 0xffff, v12
	v_cvt_f32_f16_e32 v15, v15
	v_lshl_or_b32 v21, v21, 9, 0x7c00
	v_cndmask_b32_e64 v7, 0, 1, s0
	v_cmp_gt_i32_e64 s0, 31, v22
	v_or_b32_e32 v7, v20, v7
	v_cndmask_b32_e64 v19, 0x7c00, v19, s0
	v_cmp_eq_u32_e64 s0, 0x40f, v22
	v_lshl_or_b32 v20, v24, 12, v0
	v_cndmask_b32_e64 v19, v19, v21, s0
	v_cmp_gt_i32_e64 s0, 1, v24
	v_bfe_u32 v21, v18, 20, 11
	v_mul_f64 v[2:3], v[2:3], s[20:21]
	v_and_or_b32 v6, 0x8000, v6, v19
	v_cndmask_b32_e64 v7, v20, v7, s0
	v_cmp_ne_u32_e64 s0, 0, v17
	v_lshrrev_b32_e32 v20, 8, v18
	v_lshrrev_b32_e32 v18, 16, v18
	v_lshl_or_b32 v12, v6, 16, v12
	v_and_b32_e32 v22, 7, v7
	v_cndmask_b32_e64 v17, 0, 1, s0
	v_lshrrev_b32_e32 v7, 2, v7
	v_cmp_lt_i32_e64 s0, 5, v22
	v_and_or_b32 v17, 0xffe, v20, v17
	v_sub_nc_u32_e32 v20, 0x3f1, v21
	v_cmp_eq_u32_e64 s1, 3, v22
	v_or_b32_e32 v19, 0x1000, v17
	v_med3_i32 v20, v20, 0, 13
	s_or_b32 s0, s1, s0
	v_and_or_b32 v2, 0x1ff, v3, v2
	v_add_co_ci_u32_e64 v7, s0, 0, v7, s0
	v_lshrrev_b32_e32 v22, v20, v19
	v_cmp_gt_i32_e64 s0, 31, v24
	v_bfe_u32 v23, v3, 20, 11
	v_lshlrev_b32_e32 v6, v20, v22
	v_cndmask_b32_e64 v20, 0x7c00, v7, s0
	v_cmp_ne_u32_e64 s0, v6, v19
	v_cvt_f64_f32_e32 v[6:7], v15
	v_add_nc_u32_e32 v15, 0xfffffc10, v21
	v_lshrrev_b32_e32 v21, 8, v3
	v_lshrrev_b32_e32 v3, 16, v3
	v_cndmask_b32_e64 v19, 0, 1, s0
	v_cmp_ne_u32_e64 s0, 0, v2
	v_or_b32_e32 v19, v22, v19
	v_cndmask_b32_e64 v2, 0, 1, s0
	v_cmp_ne_u32_e64 s0, 0, v0
	v_lshl_or_b32 v22, v15, 12, v17
	v_and_or_b32 v2, 0xffe, v21, v2
	v_cndmask_b32_e64 v0, 0, 1, s0
	v_cmp_gt_i32_e64 s0, 1, v15
	v_sub_nc_u32_e32 v21, 0x3f1, v23
	v_lshl_or_b32 v0, v0, 9, 0x7c00
	v_cndmask_b32_e64 v19, v22, v19, s0
	v_cmp_eq_u32_e64 s0, 0x40f, v24
	v_or_b32_e32 v22, 0x1000, v2
	v_med3_i32 v21, v21, 0, 13
	v_lshrrev_b32_e32 v24, 16, v1
	v_and_b32_e32 v25, 7, v19
	v_cndmask_b32_e64 v20, v20, v0, s0
	v_mul_f64 v[0:1], v[6:7], s[20:21]
	v_lshrrev_b32_e32 v26, v21, v22
	v_add_co_u32 v4, s0, v4, s22
	v_add_co_ci_u32_e64 v5, s0, s23, v5, s0
	v_lshlrev_b32_e32 v7, v21, v26
	v_mul_f16_sdwa v6, v37, v27 dst_sel:DWORD dst_unused:UNUSED_PAD src0_sel:WORD_1 src1_sel:DWORD
	v_cmp_lt_i32_e64 s0, 5, v25
	v_cmp_eq_u32_e64 s1, 3, v25
	v_lshrrev_b32_e32 v19, 2, v19
	v_cmp_ne_u32_e64 s2, v7, v22
	v_fmac_f16_e32 v6, v37, v16
	v_add_nc_u32_e32 v21, 0xfffffc10, v23
	s_or_b32 s0, s1, s0
	v_and_or_b32 v20, 0x8000, v24, v20
	v_add_co_ci_u32_e64 v19, s0, 0, v19, s0
	v_cndmask_b32_e64 v7, 0, 1, s2
	v_cmp_ne_u32_e64 s0, 0, v17
	v_cvt_f32_f16_e32 v6, v6
	v_lshl_or_b32 v23, v21, 12, v2
	v_and_or_b32 v0, 0x1ff, v1, v0
	v_or_b32_e32 v22, v26, v7
	v_cndmask_b32_e64 v17, 0, 1, s0
	v_cmp_gt_i32_e64 s0, 1, v21
	v_cvt_f64_f32_e32 v[6:7], v6
	v_bfe_u32 v24, v1, 20, 11
	v_and_b32_e32 v20, 0xffff, v20
	v_lshl_or_b32 v17, v17, 9, 0x7c00
	v_cndmask_b32_e64 v22, v23, v22, s0
	v_cmp_ne_u32_e64 s0, 0, v0
	v_lshrrev_b32_e32 v23, 8, v1
	v_mul_f16_sdwa v16, v37, v16 dst_sel:DWORD dst_unused:UNUSED_PAD src0_sel:WORD_1 src1_sel:DWORD
	v_and_b32_e32 v25, 7, v22
	v_cndmask_b32_e64 v0, 0, 1, s0
	v_cmp_gt_i32_e64 s0, 31, v15
	v_fma_f16 v16, v37, v27, -v16
	v_cmp_eq_u32_e64 s1, 3, v25
	v_and_or_b32 v0, 0xffe, v23, v0
	v_cndmask_b32_e64 v19, 0x7c00, v19, s0
	v_cmp_eq_u32_e64 s0, 0x40f, v15
	ds_read_b32 v23, v35 offset:1944
	v_cndmask_b32_e64 v15, v19, v17, s0
	v_sub_nc_u32_e32 v17, 0x3f1, v24
	v_cmp_lt_i32_e64 s0, 5, v25
	v_mul_f64 v[6:7], v[6:7], s[20:21]
	v_or_b32_e32 v19, 0x1000, v0
	v_and_or_b32 v15, 0x8000, v18, v15
	v_lshrrev_b32_e32 v18, 2, v22
	v_med3_i32 v17, v17, 0, 13
	s_or_b32 s0, s1, s0
	v_lshl_or_b32 v20, v15, 16, v20
	v_add_co_ci_u32_e64 v18, s0, 0, v18, s0
	v_lshrrev_b32_e32 v22, v17, v19
	v_cmp_ne_u32_e64 s0, 0, v2
	v_lshlrev_b32_e32 v15, v17, v22
	v_cndmask_b32_e64 v2, 0, 1, s0
	v_cmp_gt_i32_e64 s0, 31, v21
	v_lshl_or_b32 v2, v2, 9, 0x7c00
	v_cndmask_b32_e64 v17, 0x7c00, v18, s0
	v_cmp_ne_u32_e64 s0, v15, v19
	v_and_or_b32 v6, 0x1ff, v7, v6
	v_add_nc_u32_e32 v19, 0xfffffc10, v24
	v_cndmask_b32_e64 v15, 0, 1, s0
	v_cmp_eq_u32_e64 s0, 0x40f, v21
	v_lshl_or_b32 v18, v19, 12, v0
	v_lshrrev_b32_e32 v21, 8, v7
	v_cndmask_b32_e64 v2, v17, v2, s0
	v_cmp_ne_u32_e64 s0, 0, v6
	v_or_b32_e32 v17, v22, v15
	v_cvt_f32_f16_e32 v15, v16
	v_bfe_u32 v22, v7, 20, 11
	v_and_or_b32 v29, 0x8000, v3, v2
	v_cndmask_b32_e64 v6, 0, 1, s0
	v_cmp_gt_i32_e64 s0, 1, v19
	v_cvt_f64_f32_e32 v[15:16], v15
	v_lshrrev_b32_e32 v7, 16, v7
	v_and_or_b32 v6, 0xffe, v21, v6
	v_cndmask_b32_e64 v24, v18, v17, s0
	v_sub_nc_u32_e32 v17, 0x3f1, v22
	s_waitcnt lgkmcnt(0)
	v_lshrrev_b32_e32 v21, 16, v23
	v_add_nc_u32_e32 v22, 0xfffffc10, v22
	v_or_b32_e32 v26, 0x1000, v6
	v_and_b32_e32 v25, 7, v24
	v_med3_i32 v27, v17, 0, 13
	v_mul_f16_sdwa v28, v36, v21 dst_sel:DWORD dst_unused:UNUSED_PAD src0_sel:WORD_1 src1_sel:DWORD
	v_add_co_u32 v17, s0, v4, s22
	v_add_co_ci_u32_e64 v18, s0, s23, v5, s0
	v_lshrrev_b32_e32 v30, v27, v26
	v_fmac_f16_e32 v28, v36, v23
	v_cmp_lt_i32_e64 s0, 5, v25
	v_cmp_eq_u32_e64 s1, 3, v25
	v_lshrrev_b32_e32 v24, 2, v24
	v_lshlrev_b32_e32 v25, v27, v30
	v_cvt_f32_f16_e32 v27, v28
	v_mul_f64 v[2:3], v[15:16], s[20:21]
	s_or_b32 s0, s1, s0
	v_mul_f16_sdwa v23, v36, v23 dst_sel:DWORD dst_unused:UNUSED_PAD src0_sel:WORD_1 src1_sel:DWORD
	v_add_co_ci_u32_e64 v24, s0, 0, v24, s0
	v_cmp_ne_u32_e64 s0, v25, v26
	v_cvt_f64_f32_e32 v[15:16], v27
	v_lshl_or_b32 v26, v22, 12, v6
	v_fma_f16 v21, v36, v21, -v23
	v_cndmask_b32_e64 v25, 0, 1, s0
	v_cmp_ne_u32_e64 s0, 0, v0
	v_cvt_f32_f16_e32 v21, v21
	v_or_b32_e32 v25, v30, v25
	v_cndmask_b32_e64 v0, 0, 1, s0
	v_cmp_gt_i32_e64 s0, 31, v19
	v_lshl_or_b32 v0, v0, 9, 0x7c00
	v_cndmask_b32_e64 v23, 0x7c00, v24, s0
	v_cmp_gt_i32_e64 s0, 1, v22
	v_and_or_b32 v2, 0x1ff, v3, v2
	v_cndmask_b32_e64 v24, v26, v25, s0
	v_cmp_eq_u32_e64 s0, 0x40f, v19
	v_mul_f64 v[15:16], v[15:16], s[20:21]
	v_lshrrev_b32_e32 v25, 8, v3
	v_bfe_u32 v26, v3, 20, 11
	v_lshrrev_b32_e32 v3, 16, v3
	v_cndmask_b32_e64 v19, v23, v0, s0
	v_lshrrev_b32_e32 v23, 16, v1
	v_cvt_f64_f32_e32 v[0:1], v21
	v_cmp_ne_u32_e64 s0, 0, v2
	v_and_b32_e32 v21, 7, v24
	v_and_or_b32 v19, 0x8000, v23, v19
	v_and_b32_e32 v23, 0xffff, v29
	v_cndmask_b32_e64 v2, 0, 1, s0
	v_cmp_lt_i32_e64 s0, 5, v21
	v_cmp_eq_u32_e64 s1, 3, v21
	v_lshrrev_b32_e32 v21, 2, v24
	v_lshl_or_b32 v19, v19, 16, v23
	v_and_or_b32 v2, 0xffe, v25, v2
	v_sub_nc_u32_e32 v25, 0x3f1, v26
	s_or_b32 s0, s1, s0
	v_add_co_ci_u32_e64 v21, s0, 0, v21, s0
	v_or_b32_e32 v23, 0x1000, v2
	v_med3_i32 v24, v25, 0, 13
	v_cmp_ne_u32_e64 s0, 0, v6
	v_and_or_b32 v15, 0x1ff, v16, v15
	v_lshrrev_b32_e32 v27, 8, v16
	v_mul_f64 v[0:1], v[0:1], s[20:21]
	v_lshrrev_b32_e32 v25, v24, v23
	v_cndmask_b32_e64 v6, 0, 1, s0
	v_cmp_gt_i32_e64 s0, 31, v22
	v_bfe_u32 v28, v16, 20, 11
	v_lshrrev_b32_e32 v16, 16, v16
	v_lshlrev_b32_e32 v24, v24, v25
	v_lshl_or_b32 v6, v6, 9, 0x7c00
	v_cndmask_b32_e64 v21, 0x7c00, v21, s0
	v_cmp_ne_u32_e64 s0, 0, v15
	v_cndmask_b32_e64 v15, 0, 1, s0
	v_cmp_ne_u32_e64 s0, v24, v23
	v_add_nc_u32_e32 v24, 0xfffffc10, v26
	v_sub_nc_u32_e32 v26, 0x3f1, v28
	v_and_or_b32 v15, 0xffe, v27, v15
	v_cndmask_b32_e64 v23, 0, 1, s0
	v_cmp_eq_u32_e64 s0, 0x40f, v22
	v_lshl_or_b32 v22, v24, 12, v2
	v_and_or_b32 v0, 0x1ff, v1, v0
	v_bfe_u32 v27, v1, 20, 11
	v_cndmask_b32_e64 v6, v21, v6, s0
	v_or_b32_e32 v21, v25, v23
	v_or_b32_e32 v23, 0x1000, v15
	v_med3_i32 v25, v26, 0, 13
	v_cmp_gt_i32_e64 s0, 1, v24
	v_lshrrev_b32_e32 v26, 8, v1
	v_and_or_b32 v6, 0x8000, v7, v6
	v_sub_nc_u32_e32 v7, 0x3f1, v27
	v_cndmask_b32_e64 v21, v22, v21, s0
	v_lshrrev_b32_e32 v22, v25, v23
	v_cmp_ne_u32_e64 s0, 0, v0
	v_med3_i32 v7, v7, 0, 13
	v_and_b32_e32 v29, 7, v21
	v_lshlrev_b32_e32 v25, v25, v22
	v_cndmask_b32_e64 v0, 0, 1, s0
	v_lshrrev_b32_e32 v21, 2, v21
	v_cmp_lt_i32_e64 s0, 5, v29
	v_cmp_ne_u32_e64 s1, v25, v23
	v_and_or_b32 v0, 0xffe, v26, v0
	v_add_nc_u32_e32 v26, 0xfffffc10, v28
	v_cndmask_b32_e64 v23, 0, 1, s1
	v_cmp_eq_u32_e64 s1, 3, v29
	v_or_b32_e32 v25, 0x1000, v0
	v_lshl_or_b32 v28, v26, 12, v15
	v_or_b32_e32 v22, v22, v23
	s_or_b32 s0, s1, s0
	v_lshrrev_b32_e32 v23, v7, v25
	v_add_co_ci_u32_e64 v21, s0, 0, v21, s0
	v_cmp_gt_i32_e64 s0, 1, v26
	v_lshlrev_b32_e32 v7, v7, v23
	v_cndmask_b32_e64 v22, v28, v22, s0
	v_cmp_ne_u32_e64 s0, 0, v2
	v_cndmask_b32_e64 v2, 0, 1, s0
	v_cmp_ne_u32_e64 s0, v7, v25
	v_add_nc_u32_e32 v25, 0xfffffc10, v27
	v_and_b32_e32 v27, 7, v22
	v_lshl_or_b32 v2, v2, 9, 0x7c00
	v_cndmask_b32_e64 v7, 0, 1, s0
	v_cmp_gt_i32_e64 s0, 31, v24
	v_cmp_gt_i32_e64 s2, 1, v25
	v_cmp_eq_u32_e64 s1, 3, v27
	v_or_b32_e32 v7, v23, v7
	v_lshl_or_b32 v23, v25, 12, v0
	v_cndmask_b32_e64 v21, 0x7c00, v21, s0
	v_cmp_lt_i32_e64 s0, 5, v27
	v_cndmask_b32_e64 v7, v23, v7, s2
	v_cmp_eq_u32_e64 s2, 0x40f, v24
	s_or_b32 s0, s1, s0
	v_cndmask_b32_e64 v2, v21, v2, s2
	v_lshrrev_b32_e32 v21, 2, v22
	v_and_b32_e32 v22, 7, v7
	v_lshrrev_b32_e32 v7, 2, v7
	v_cmp_gt_i32_e64 s2, 31, v26
	v_and_or_b32 v2, 0x8000, v3, v2
	v_add_co_ci_u32_e64 v21, s0, 0, v21, s0
	v_cmp_ne_u32_e64 s0, 0, v15
	v_cmp_eq_u32_e64 s1, 3, v22
	v_and_b32_e32 v3, 0xffff, v6
	v_cndmask_b32_e64 v21, 0x7c00, v21, s2
	v_cndmask_b32_e64 v15, 0, 1, s0
	v_cmp_lt_i32_e64 s0, 5, v22
	v_lshl_or_b32 v15, v15, 9, 0x7c00
	s_or_b32 s0, s1, s0
	v_add_co_ci_u32_e64 v7, s0, 0, v7, s0
	v_cmp_ne_u32_e64 s0, 0, v0
	v_cndmask_b32_e64 v0, 0, 1, s0
	v_cmp_eq_u32_e64 s0, 0x40f, v26
	v_lshl_or_b32 v0, v0, 9, 0x7c00
	v_cndmask_b32_e64 v15, v21, v15, s0
	v_cmp_gt_i32_e64 s0, 31, v25
	v_and_or_b32 v6, 0x8000, v16, v15
	v_cndmask_b32_e64 v7, 0x7c00, v7, s0
	v_cmp_eq_u32_e64 s0, 0x40f, v25
	v_lshrrev_b32_e32 v15, 16, v1
	v_lshl_or_b32 v16, v2, 16, v3
	v_and_b32_e32 v3, 0xffff, v6
	v_cndmask_b32_e64 v7, v7, v0, s0
	v_add_co_u32 v0, s0, v17, s22
	v_add_co_ci_u32_e64 v1, s0, s23, v18, s0
	v_and_or_b32 v2, 0x8000, v15, v7
	v_add_co_u32 v6, s0, v0, s22
	v_add_co_ci_u32_e64 v7, s0, s23, v1, s0
	v_lshl_or_b32 v15, v2, 16, v3
	v_add_co_u32 v2, s0, v6, s22
	v_add_co_ci_u32_e64 v3, s0, s23, v7, s0
	global_store_dword v[4:5], v12, off
	global_store_dword v[17:18], v20, off
	;; [unrolled: 1-line block ×5, first 2 shown]
	s_and_b32 exec_lo, exec_lo, vcc_lo
	s_cbranch_execz .LBB0_15
; %bb.14:
	s_clause 0x4
	global_load_dword v15, v[8:9], off offset:252
	global_load_dword v16, v[8:9], off offset:576
	;; [unrolled: 1-line block ×5, first 2 shown]
	ds_read2_b32 v[4:5], v35 offset0:63 offset1:144
	ds_read2_b32 v[6:7], v13 offset0:97 offset1:178
	;; [unrolled: 1-line block ×3, first 2 shown]
	v_mad_u64_u32 v[2:3], null, 0xfffff964, s8, v[2:3]
	s_mul_i32 s0, s9, 0xfffff964
	s_sub_i32 s0, s0, s8
	v_add_nc_u32_e32 v3, s0, v3
	v_add_co_u32 v12, vcc_lo, v2, s22
	v_add_co_ci_u32_e32 v13, vcc_lo, s23, v3, vcc_lo
	s_waitcnt lgkmcnt(2)
	v_lshrrev_b32_e32 v14, 16, v4
	v_lshrrev_b32_e32 v20, 16, v5
	s_waitcnt lgkmcnt(1)
	v_lshrrev_b32_e32 v21, 16, v6
	v_lshrrev_b32_e32 v22, 16, v7
	s_waitcnt lgkmcnt(0)
	v_lshrrev_b32_e32 v23, 16, v0
	s_waitcnt vmcnt(4)
	v_mul_f16_sdwa v24, v14, v15 dst_sel:DWORD dst_unused:UNUSED_PAD src0_sel:DWORD src1_sel:WORD_1
	v_mul_f16_sdwa v25, v4, v15 dst_sel:DWORD dst_unused:UNUSED_PAD src0_sel:DWORD src1_sel:WORD_1
	s_waitcnt vmcnt(3)
	v_mul_f16_sdwa v26, v20, v16 dst_sel:DWORD dst_unused:UNUSED_PAD src0_sel:DWORD src1_sel:WORD_1
	v_mul_f16_sdwa v27, v5, v16 dst_sel:DWORD dst_unused:UNUSED_PAD src0_sel:DWORD src1_sel:WORD_1
	s_waitcnt vmcnt(2)
	v_mul_f16_sdwa v28, v21, v17 dst_sel:DWORD dst_unused:UNUSED_PAD src0_sel:DWORD src1_sel:WORD_1
	v_fmac_f16_e32 v24, v4, v15
	v_fma_f16 v4, v15, v14, -v25
	v_fmac_f16_e32 v26, v5, v16
	v_mul_f16_sdwa v29, v6, v17 dst_sel:DWORD dst_unused:UNUSED_PAD src0_sel:DWORD src1_sel:WORD_1
	s_waitcnt vmcnt(1)
	v_mul_f16_sdwa v30, v22, v18 dst_sel:DWORD dst_unused:UNUSED_PAD src0_sel:DWORD src1_sel:WORD_1
	v_cvt_f32_f16_e32 v5, v24
	v_cvt_f32_f16_e32 v14, v4
	v_fma_f16 v16, v16, v20, -v27
	v_fmac_f16_e32 v28, v6, v17
	v_cvt_f32_f16_e32 v6, v26
	v_cvt_f64_f32_e32 v[4:5], v5
	v_cvt_f64_f32_e32 v[14:15], v14
	v_mul_f16_sdwa v31, v7, v18 dst_sel:DWORD dst_unused:UNUSED_PAD src0_sel:DWORD src1_sel:WORD_1
	s_waitcnt vmcnt(0)
	v_mul_f16_sdwa v25, v23, v19 dst_sel:DWORD dst_unused:UNUSED_PAD src0_sel:DWORD src1_sel:WORD_1
	v_mul_f16_sdwa v32, v0, v19 dst_sel:DWORD dst_unused:UNUSED_PAD src0_sel:DWORD src1_sel:WORD_1
	v_fma_f16 v17, v17, v21, -v29
	v_fmac_f16_e32 v30, v7, v18
	v_cvt_f32_f16_e32 v16, v16
	v_cvt_f64_f32_e32 v[6:7], v6
	v_fma_f16 v18, v18, v22, -v31
	v_fmac_f16_e32 v25, v0, v19
	v_fma_f16 v0, v19, v23, -v32
	v_cvt_f32_f16_e32 v19, v28
	v_cvt_f32_f16_e32 v20, v17
	v_cvt_f64_f32_e32 v[16:17], v16
	v_cvt_f32_f16_e32 v24, v18
	v_cvt_f32_f16_e32 v22, v30
	v_cvt_f64_f32_e32 v[18:19], v19
	v_cvt_f64_f32_e32 v[20:21], v20
	v_cvt_f32_f16_e32 v26, v25
	v_cvt_f64_f32_e32 v[24:25], v24
	v_cvt_f64_f32_e32 v[22:23], v22
	v_mul_f64 v[4:5], v[4:5], s[20:21]
	v_mul_f64 v[14:15], v[14:15], s[20:21]
	v_add_co_u32 v30, vcc_lo, v12, s22
	v_add_co_ci_u32_e32 v31, vcc_lo, s23, v13, vcc_lo
	v_cvt_f32_f16_e32 v0, v0
	v_cvt_f64_f32_e32 v[26:27], v26
	v_mul_f64 v[6:7], v[6:7], s[20:21]
	v_add_co_u32 v32, vcc_lo, v30, s22
	v_add_co_ci_u32_e32 v33, vcc_lo, s23, v31, vcc_lo
	v_cvt_f64_f32_e32 v[28:29], v0
	v_mul_f64 v[16:17], v[16:17], s[20:21]
	v_add_co_u32 v36, vcc_lo, v32, s22
	v_mul_f64 v[18:19], v[18:19], s[20:21]
	v_mul_f64 v[20:21], v[20:21], s[20:21]
	v_add_co_ci_u32_e32 v37, vcc_lo, s23, v33, vcc_lo
	v_mul_f64 v[22:23], v[22:23], s[20:21]
	v_and_or_b32 v0, 0x1ff, v5, v4
	v_and_or_b32 v14, 0x1ff, v15, v14
	v_mul_f64 v[24:25], v[24:25], s[20:21]
	v_lshrrev_b32_e32 v4, 8, v5
	v_bfe_u32 v34, v5, 20, 11
	v_cmp_ne_u32_e32 vcc_lo, 0, v0
	v_lshrrev_b32_e32 v38, 8, v15
	v_mul_f64 v[26:27], v[26:27], s[20:21]
	v_and_or_b32 v6, 0x1ff, v7, v6
	v_bfe_u32 v39, v15, 20, 11
	v_cndmask_b32_e64 v0, 0, 1, vcc_lo
	v_cmp_ne_u32_e32 vcc_lo, 0, v14
	v_lshrrev_b32_e32 v40, 8, v7
	v_mul_f64 v[28:29], v[28:29], s[20:21]
	v_and_or_b32 v16, 0x1ff, v17, v16
	v_and_or_b32 v0, 0xffe, v4, v0
	v_cndmask_b32_e64 v14, 0, 1, vcc_lo
	v_cmp_ne_u32_e32 vcc_lo, 0, v6
	v_and_or_b32 v18, 0x1ff, v19, v18
	v_and_or_b32 v20, 0x1ff, v21, v20
	v_bfe_u32 v41, v7, 20, 11
	v_and_or_b32 v22, 0x1ff, v23, v22
	v_cndmask_b32_e64 v6, 0, 1, vcc_lo
	v_cmp_ne_u32_e32 vcc_lo, 0, v16
	v_and_or_b32 v24, 0x1ff, v25, v24
	v_bfe_u32 v43, v17, 20, 11
	v_sub_nc_u32_e32 v56, 0x3f1, v34
	v_add_nc_u32_e32 v34, 0xfffffc10, v34
	v_cndmask_b32_e64 v16, 0, 1, vcc_lo
	v_cmp_ne_u32_e32 vcc_lo, 0, v18
	v_and_or_b32 v26, 0x1ff, v27, v26
	v_sub_nc_u32_e32 v57, 0x3f1, v39
	v_and_or_b32 v14, 0xffe, v38, v14
	v_lshrrev_b32_e32 v42, 8, v17
	v_cndmask_b32_e64 v18, 0, 1, vcc_lo
	v_cmp_ne_u32_e32 vcc_lo, 0, v20
	v_and_or_b32 v28, 0x1ff, v29, v28
	v_bfe_u32 v45, v19, 20, 11
	v_bfe_u32 v47, v21, 20, 11
	v_add_nc_u32_e32 v39, 0xfffffc10, v39
	v_cndmask_b32_e64 v20, 0, 1, vcc_lo
	v_cmp_ne_u32_e32 vcc_lo, 0, v22
	v_sub_nc_u32_e32 v58, 0x3f1, v41
	v_sub_nc_u32_e32 v59, 0x3f1, v43
	v_med3_i32 v4, v56, 0, 13
	v_med3_i32 v38, v57, 0, 13
	v_cndmask_b32_e64 v22, 0, 1, vcc_lo
	v_cmp_ne_u32_e32 vcc_lo, 0, v24
	v_and_or_b32 v6, 0xffe, v40, v6
	v_or_b32_e32 v56, 0x1000, v0
	v_lshl_or_b32 v57, v34, 12, v0
	v_lshrrev_b32_e32 v44, 8, v19
	v_cndmask_b32_e64 v24, 0, 1, vcc_lo
	v_cmp_ne_u32_e32 vcc_lo, 0, v26
	v_lshrrev_b32_e32 v46, 8, v21
	v_bfe_u32 v49, v23, 20, 11
	v_bfe_u32 v51, v25, 20, 11
	v_add_nc_u32_e32 v41, 0xfffffc10, v41
	v_cndmask_b32_e64 v26, 0, 1, vcc_lo
	v_cmp_ne_u32_e32 vcc_lo, 0, v28
	v_sub_nc_u32_e32 v60, 0x3f1, v45
	v_sub_nc_u32_e32 v61, 0x3f1, v47
	v_med3_i32 v40, v58, 0, 13
	v_and_or_b32 v16, 0xffe, v42, v16
	v_cndmask_b32_e64 v28, 0, 1, vcc_lo
	v_cmp_ne_u32_e32 vcc_lo, 0, v0
	v_med3_i32 v42, v59, 0, 13
	v_or_b32_e32 v58, 0x1000, v14
	v_lshl_or_b32 v59, v39, 12, v14
	v_lshrrev_b32_e32 v48, 8, v23
	v_cndmask_b32_e64 v0, 0, 1, vcc_lo
	v_cmp_ne_u32_e32 vcc_lo, 0, v14
	v_lshrrev_b32_e32 v50, 8, v25
	v_bfe_u32 v53, v27, 20, 11
	v_bfe_u32 v55, v29, 20, 11
	v_add_nc_u32_e32 v43, 0xfffffc10, v43
	v_cndmask_b32_e64 v14, 0, 1, vcc_lo
	v_cmp_ne_u32_e32 vcc_lo, 0, v6
	v_sub_nc_u32_e32 v62, 0x3f1, v49
	v_sub_nc_u32_e32 v63, 0x3f1, v51
	v_and_or_b32 v18, 0xffe, v44, v18
	v_med3_i32 v44, v60, 0, 13
	v_and_or_b32 v20, 0xffe, v46, v20
	v_med3_i32 v46, v61, 0, 13
	v_or_b32_e32 v60, 0x1000, v6
	v_lshl_or_b32 v61, v41, 12, v6
	v_cndmask_b32_e64 v6, 0, 1, vcc_lo
	v_cmp_ne_u32_e32 vcc_lo, 0, v16
	v_lshrrev_b32_e32 v52, 8, v27
	v_lshrrev_b32_e32 v54, 8, v29
	v_add_nc_u32_e32 v45, 0xfffffc10, v45
	v_sub_nc_u32_e32 v64, 0x3f1, v53
	v_sub_nc_u32_e32 v65, 0x3f1, v55
	v_and_or_b32 v22, 0xffe, v48, v22
	v_med3_i32 v48, v62, 0, 13
	v_and_or_b32 v24, 0xffe, v50, v24
	v_med3_i32 v50, v63, 0, 13
	v_or_b32_e32 v62, 0x1000, v16
	v_lshl_or_b32 v63, v43, 12, v16
	v_cndmask_b32_e64 v16, 0, 1, vcc_lo
	v_cmp_ne_u32_e32 vcc_lo, 0, v18
	v_add_nc_u32_e32 v47, 0xfffffc10, v47
	v_and_or_b32 v26, 0xffe, v52, v26
	v_med3_i32 v52, v64, 0, 13
	v_and_or_b32 v28, 0xffe, v54, v28
	v_med3_i32 v54, v65, 0, 13
	v_or_b32_e32 v64, 0x1000, v18
	v_lshl_or_b32 v65, v45, 12, v18
	v_cndmask_b32_e64 v18, 0, 1, vcc_lo
	v_cmp_ne_u32_e32 vcc_lo, 0, v20
	v_lshrrev_b32_e32 v69, v40, v60
	v_add_nc_u32_e32 v49, 0xfffffc10, v49
	v_or_b32_e32 v66, 0x1000, v20
	v_lshl_or_b32 v67, v47, 12, v20
	v_cndmask_b32_e64 v20, 0, 1, vcc_lo
	v_or_b32_e32 v68, 0x1000, v22
	v_cmp_ne_u32_e32 vcc_lo, 0, v22
	v_lshrrev_b32_e32 v71, v44, v64
	v_lshlrev_b32_e32 v40, v40, v69
	v_add_nc_u32_e32 v51, 0xfffffc10, v51
	v_lshl_or_b32 v70, v49, 12, v22
	v_cndmask_b32_e64 v22, 0, 1, vcc_lo
	v_or_b32_e32 v74, 0x1000, v26
	v_lshlrev_b32_e32 v44, v44, v71
	v_cmp_ne_u32_e32 vcc_lo, v40, v60
	v_lshrrev_b32_e32 v40, v48, v68
	v_cmp_ne_u32_e64 s0, 0, v24
	v_add_nc_u32_e32 v53, 0xfffffc10, v53
	v_or_b32_e32 v72, 0x1000, v24
	v_lshl_or_b32 v73, v51, 12, v24
	v_lshlrev_b32_e32 v48, v48, v40
	v_cndmask_b32_e64 v24, 0, 1, s0
	v_cmp_ne_u32_e64 s0, v44, v64
	v_lshrrev_b32_e32 v44, v52, v74
	v_or_b32_e32 v64, 0x1000, v28
	v_cmp_ne_u32_e64 s1, 0, v26
	v_add_nc_u32_e32 v55, 0xfffffc10, v55
	v_lshl_or_b32 v60, v53, 12, v26
	v_lshlrev_b32_e32 v52, v52, v44
	v_cmp_ne_u32_e64 s2, 0, v28
	v_cndmask_b32_e64 v26, 0, 1, s1
	v_cmp_ne_u32_e64 s1, v48, v68
	v_lshrrev_b32_e32 v68, v54, v64
	v_lshl_or_b32 v48, v55, 12, v28
	v_cndmask_b32_e64 v28, 0, 1, s2
	v_cmp_ne_u32_e64 s2, v52, v74
	v_lshrrev_b32_e32 v52, v4, v56
	v_lshlrev_b32_e32 v54, v54, v68
	v_lshrrev_b32_e32 v74, v38, v58
	v_lshl_or_b32 v0, v0, 9, 0x7c00
	v_lshl_or_b32 v14, v14, 9, 0x7c00
	v_lshlrev_b32_e32 v4, v4, v52
	v_cmp_ne_u32_e64 s3, v54, v64
	v_lshrrev_b32_e32 v54, v42, v62
	v_lshrrev_b32_e32 v64, v46, v66
	v_lshlrev_b32_e32 v38, v38, v74
	v_cmp_ne_u32_e64 s4, v4, v56
	v_lshrrev_b32_e32 v4, v50, v72
	v_lshlrev_b32_e32 v42, v42, v54
	v_lshlrev_b32_e32 v46, v46, v64
	v_lshl_or_b32 v6, v6, 9, 0x7c00
	v_cndmask_b32_e64 v56, 0, 1, s4
	v_cmp_ne_u32_e64 s4, v38, v58
	v_cndmask_b32_e64 v58, 0, 1, vcc_lo
	v_cmp_ne_u32_e32 vcc_lo, v42, v62
	v_lshlrev_b32_e32 v50, v50, v4
	v_or_b32_e32 v52, v52, v56
	v_cndmask_b32_e64 v38, 0, 1, s4
	v_cndmask_b32_e64 v56, 0, 1, s3
	v_cndmask_b32_e64 v42, 0, 1, vcc_lo
	v_cmp_ne_u32_e32 vcc_lo, v46, v66
	v_or_b32_e32 v58, v69, v58
	v_or_b32_e32 v38, v74, v38
	v_cndmask_b32_e64 v62, 0, 1, s0
	v_or_b32_e32 v42, v54, v42
	v_cndmask_b32_e64 v46, 0, 1, vcc_lo
	v_cmp_ne_u32_e32 vcc_lo, v50, v72
	v_cndmask_b32_e64 v66, 0, 1, s1
	v_or_b32_e32 v54, v71, v62
	v_cndmask_b32_e64 v72, 0, 1, s2
	v_or_b32_e32 v46, v64, v46
	v_cndmask_b32_e64 v50, 0, 1, vcc_lo
	v_cmp_gt_i32_e32 vcc_lo, 1, v34
	v_or_b32_e32 v40, v40, v66
	v_or_b32_e32 v44, v44, v72
	v_lshl_or_b32 v16, v16, 9, 0x7c00
	v_or_b32_e32 v4, v4, v50
	v_cndmask_b32_e32 v52, v57, v52, vcc_lo
	v_cmp_gt_i32_e32 vcc_lo, 1, v39
	v_or_b32_e32 v50, v68, v56
	v_lshl_or_b32 v18, v18, 9, 0x7c00
	v_lshl_or_b32 v20, v20, 9, 0x7c00
	v_lshl_or_b32 v22, v22, 9, 0x7c00
	v_cndmask_b32_e32 v38, v59, v38, vcc_lo
	v_cmp_gt_i32_e32 vcc_lo, 1, v41
	v_lshl_or_b32 v24, v24, 9, 0x7c00
	v_lshl_or_b32 v26, v26, 9, 0x7c00
	v_lshrrev_b32_e32 v5, 16, v5
	v_and_b32_e32 v57, 7, v38
	v_cndmask_b32_e32 v56, v61, v58, vcc_lo
	v_cmp_gt_i32_e32 vcc_lo, 1, v43
	v_lshrrev_b32_e32 v38, 2, v38
	v_lshrrev_b32_e32 v7, 16, v7
	v_cmp_lt_i32_e64 s1, 5, v57
	v_and_b32_e32 v58, 7, v56
	v_cndmask_b32_e32 v42, v63, v42, vcc_lo
	v_cmp_gt_i32_e32 vcc_lo, 1, v45
	v_cmp_eq_u32_e64 s2, 3, v57
	v_lshrrev_b32_e32 v56, 2, v56
	v_cmp_lt_i32_e64 s3, 5, v58
	v_and_b32_e32 v59, 7, v42
	v_cndmask_b32_e32 v54, v65, v54, vcc_lo
	v_cmp_gt_i32_e32 vcc_lo, 1, v47
	v_cmp_eq_u32_e64 s4, 3, v58
	v_lshrrev_b32_e32 v42, 2, v42
	v_cmp_lt_i32_e64 s5, 5, v59
	v_cmp_eq_u32_e64 s6, 3, v59
	v_cndmask_b32_e32 v46, v67, v46, vcc_lo
	v_cmp_gt_i32_e32 vcc_lo, 1, v49
	v_lshrrev_b32_e32 v15, 16, v15
	v_lshrrev_b32_e32 v19, 16, v19
	;; [unrolled: 1-line block ×3, first 2 shown]
	v_and_b32_e32 v61, 7, v46
	v_cndmask_b32_e32 v40, v70, v40, vcc_lo
	v_cmp_gt_i32_e32 vcc_lo, 1, v51
	v_lshrrev_b32_e32 v46, 2, v46
	v_lshrrev_b32_e32 v23, 16, v23
	v_cmp_lt_i32_e64 s9, 5, v61
	v_and_b32_e32 v62, 7, v40
	v_cndmask_b32_e32 v4, v73, v4, vcc_lo
	v_cmp_gt_i32_e32 vcc_lo, 1, v53
	v_cmp_eq_u32_e64 s10, 3, v61
	v_lshrrev_b32_e32 v40, 2, v40
	v_cmp_lt_i32_e64 s11, 5, v62
	v_and_b32_e32 v63, 7, v4
	v_cndmask_b32_e32 v44, v60, v44, vcc_lo
	v_cmp_gt_i32_e32 vcc_lo, 1, v55
	v_and_b32_e32 v60, 7, v54
	v_lshrrev_b32_e32 v54, 2, v54
	v_cmp_eq_u32_e64 s12, 3, v62
	v_and_b32_e32 v64, 7, v44
	v_cndmask_b32_e32 v48, v48, v50, vcc_lo
	v_and_b32_e32 v50, 7, v52
	v_lshrrev_b32_e32 v52, 2, v52
	v_cmp_lt_i32_e64 s7, 5, v60
	v_cmp_eq_u32_e64 s8, 3, v60
	v_cmp_lt_i32_e64 s13, 5, v63
	v_cmp_lt_i32_e32 vcc_lo, 5, v50
	v_cmp_eq_u32_e64 s0, 3, v50
	v_cmp_eq_u32_e64 s14, 3, v63
	v_and_b32_e32 v65, 7, v48
	v_lshrrev_b32_e32 v4, 2, v4
	v_cmp_lt_i32_e64 s15, 5, v64
	s_or_b32 vcc_lo, s0, vcc_lo
	v_cmp_eq_u32_e64 s16, 3, v64
	v_add_co_ci_u32_e32 v50, vcc_lo, 0, v52, vcc_lo
	s_or_b32 vcc_lo, s2, s1
	v_lshrrev_b32_e32 v44, 2, v44
	v_add_co_ci_u32_e32 v38, vcc_lo, 0, v38, vcc_lo
	s_or_b32 vcc_lo, s4, s3
	v_cmp_lt_i32_e64 s17, 5, v65
	v_add_co_ci_u32_e32 v52, vcc_lo, 0, v56, vcc_lo
	s_or_b32 vcc_lo, s6, s5
	v_cmp_eq_u32_e64 s18, 3, v65
	v_add_co_ci_u32_e32 v42, vcc_lo, 0, v42, vcc_lo
	s_or_b32 vcc_lo, s8, s7
	v_lshrrev_b32_e32 v48, 2, v48
	v_add_co_ci_u32_e32 v54, vcc_lo, 0, v54, vcc_lo
	s_or_b32 vcc_lo, s10, s9
	v_lshrrev_b32_e32 v27, 16, v27
	v_add_co_ci_u32_e32 v46, vcc_lo, 0, v46, vcc_lo
	s_or_b32 vcc_lo, s12, s11
	v_lshl_or_b32 v28, v28, 9, 0x7c00
	v_add_co_ci_u32_e32 v40, vcc_lo, 0, v40, vcc_lo
	s_or_b32 vcc_lo, s14, s13
	v_lshrrev_b32_e32 v21, 16, v21
	v_add_co_ci_u32_e32 v4, vcc_lo, 0, v4, vcc_lo
	s_or_b32 vcc_lo, s16, s15
	v_lshrrev_b32_e32 v25, 16, v25
	;; [unrolled: 3-line block ×3, first 2 shown]
	v_add_co_ci_u32_e32 v48, vcc_lo, 0, v48, vcc_lo
	v_cmp_gt_i32_e32 vcc_lo, 31, v34
	v_cndmask_b32_e32 v50, 0x7c00, v50, vcc_lo
	v_cmp_gt_i32_e32 vcc_lo, 31, v39
	v_cndmask_b32_e32 v38, 0x7c00, v38, vcc_lo
	;; [unrolled: 2-line block ×10, first 2 shown]
	v_cmp_eq_u32_e32 vcc_lo, 0x40f, v34
	v_cndmask_b32_e32 v0, v50, v0, vcc_lo
	v_cmp_eq_u32_e32 vcc_lo, 0x40f, v39
	v_and_or_b32 v0, 0x8000, v5, v0
	v_cndmask_b32_e32 v14, v38, v14, vcc_lo
	v_cmp_eq_u32_e32 vcc_lo, 0x40f, v41
	v_and_b32_e32 v0, 0xffff, v0
	v_and_or_b32 v5, 0x8000, v15, v14
	v_cndmask_b32_e32 v6, v52, v6, vcc_lo
	v_cmp_eq_u32_e32 vcc_lo, 0x40f, v43
	v_lshl_or_b32 v0, v5, 16, v0
	v_and_or_b32 v6, 0x8000, v7, v6
	v_cndmask_b32_e32 v16, v42, v16, vcc_lo
	v_cmp_eq_u32_e32 vcc_lo, 0x40f, v45
	v_and_b32_e32 v6, 0xffff, v6
	v_and_or_b32 v7, 0x8000, v17, v16
	v_cndmask_b32_e32 v18, v54, v18, vcc_lo
	v_cmp_eq_u32_e32 vcc_lo, 0x40f, v47
	v_lshl_or_b32 v5, v7, 16, v6
	v_and_or_b32 v14, 0x8000, v19, v18
	v_cndmask_b32_e32 v20, v46, v20, vcc_lo
	v_cmp_eq_u32_e32 vcc_lo, 0x40f, v49
	v_and_b32_e32 v14, 0xffff, v14
	v_and_or_b32 v15, 0x8000, v21, v20
	v_cndmask_b32_e32 v22, v40, v22, vcc_lo
	v_cmp_eq_u32_e32 vcc_lo, 0x40f, v51
	v_lshl_or_b32 v6, v15, 16, v14
	v_and_or_b32 v16, 0x8000, v23, v22
	v_cndmask_b32_e32 v4, v4, v24, vcc_lo
	v_cmp_eq_u32_e32 vcc_lo, 0x40f, v53
	v_and_b32_e32 v16, 0xffff, v16
	v_and_or_b32 v4, 0x8000, v25, v4
	v_cndmask_b32_e32 v24, v44, v26, vcc_lo
	v_cmp_eq_u32_e32 vcc_lo, 0x40f, v55
	v_lshl_or_b32 v4, v4, 16, v16
	v_and_or_b32 v17, 0x8000, v27, v24
	v_cndmask_b32_e32 v26, v48, v28, vcc_lo
	v_and_b32_e32 v17, 0xffff, v17
	v_and_or_b32 v18, 0x8000, v29, v26
	v_lshl_or_b32 v7, v18, 16, v17
	global_store_dword v[2:3], v0, off
	global_store_dword v[12:13], v5, off
	;; [unrolled: 1-line block ×5, first 2 shown]
	global_load_dword v0, v[8:9], off offset:1872
	v_lshrrev_b32_e32 v2, 16, v1
	s_waitcnt vmcnt(0)
	v_mul_f16_sdwa v3, v2, v0 dst_sel:DWORD dst_unused:UNUSED_PAD src0_sel:DWORD src1_sel:WORD_1
	v_mul_f16_sdwa v4, v1, v0 dst_sel:DWORD dst_unused:UNUSED_PAD src0_sel:DWORD src1_sel:WORD_1
	v_fmac_f16_e32 v3, v1, v0
	v_fma_f16 v0, v0, v2, -v4
	v_cvt_f32_f16_e32 v1, v3
	v_cvt_f32_f16_e32 v2, v0
	v_cvt_f64_f32_e32 v[0:1], v1
	v_cvt_f64_f32_e32 v[2:3], v2
	v_mul_f64 v[0:1], v[0:1], s[20:21]
	v_mul_f64 v[2:3], v[2:3], s[20:21]
	v_and_or_b32 v0, 0x1ff, v1, v0
	v_and_or_b32 v2, 0x1ff, v3, v2
	v_lshrrev_b32_e32 v4, 8, v1
	v_bfe_u32 v5, v1, 20, 11
	v_lshrrev_b32_e32 v6, 8, v3
	v_cmp_ne_u32_e32 vcc_lo, 0, v0
	v_bfe_u32 v7, v3, 20, 11
	v_lshrrev_b32_e32 v1, 16, v1
	v_sub_nc_u32_e32 v8, 0x3f1, v5
	v_add_nc_u32_e32 v5, 0xfffffc10, v5
	v_cndmask_b32_e64 v0, 0, 1, vcc_lo
	v_cmp_ne_u32_e32 vcc_lo, 0, v2
	v_lshrrev_b32_e32 v3, 16, v3
	v_and_or_b32 v0, 0xffe, v4, v0
	v_cndmask_b32_e64 v2, 0, 1, vcc_lo
	v_sub_nc_u32_e32 v4, 0x3f1, v7
	v_add_nc_u32_e32 v7, 0xfffffc10, v7
	v_and_or_b32 v2, 0xffe, v6, v2
	v_med3_i32 v6, v8, 0, 13
	v_or_b32_e32 v8, 0x1000, v0
	v_med3_i32 v4, v4, 0, 13
	v_or_b32_e32 v9, 0x1000, v2
	v_lshrrev_b32_e32 v12, v6, v8
	v_lshrrev_b32_e32 v13, v4, v9
	v_lshlrev_b32_e32 v6, v6, v12
	v_lshlrev_b32_e32 v4, v4, v13
	v_cmp_ne_u32_e32 vcc_lo, v6, v8
	v_lshl_or_b32 v8, v5, 12, v0
	v_cndmask_b32_e64 v6, 0, 1, vcc_lo
	v_cmp_ne_u32_e32 vcc_lo, v4, v9
	v_lshl_or_b32 v9, v7, 12, v2
	v_or_b32_e32 v6, v12, v6
	v_cndmask_b32_e64 v4, 0, 1, vcc_lo
	v_cmp_gt_i32_e32 vcc_lo, 1, v5
	v_or_b32_e32 v4, v13, v4
	v_cndmask_b32_e32 v6, v8, v6, vcc_lo
	v_cmp_gt_i32_e32 vcc_lo, 1, v7
	v_and_b32_e32 v8, 7, v6
	v_cndmask_b32_e32 v4, v9, v4, vcc_lo
	v_cmp_ne_u32_e32 vcc_lo, 0, v0
	v_lshrrev_b32_e32 v6, 2, v6
	v_cmp_eq_u32_e64 s0, 3, v8
	v_and_b32_e32 v9, 7, v4
	v_cndmask_b32_e64 v0, 0, 1, vcc_lo
	v_cmp_ne_u32_e32 vcc_lo, 0, v2
	v_lshrrev_b32_e32 v4, 2, v4
	v_cmp_lt_i32_e64 s1, 5, v9
	v_cmp_eq_u32_e64 s2, 3, v9
	v_cndmask_b32_e64 v2, 0, 1, vcc_lo
	v_cmp_lt_i32_e32 vcc_lo, 5, v8
	v_lshl_or_b32 v0, v0, 9, 0x7c00
	v_lshl_or_b32 v2, v2, 9, 0x7c00
	s_or_b32 vcc_lo, s0, vcc_lo
	v_add_co_ci_u32_e32 v6, vcc_lo, 0, v6, vcc_lo
	s_or_b32 vcc_lo, s2, s1
	v_add_co_ci_u32_e32 v4, vcc_lo, 0, v4, vcc_lo
	v_cmp_gt_i32_e32 vcc_lo, 31, v5
	v_cndmask_b32_e32 v6, 0x7c00, v6, vcc_lo
	v_cmp_gt_i32_e32 vcc_lo, 31, v7
	v_cndmask_b32_e32 v4, 0x7c00, v4, vcc_lo
	v_cmp_eq_u32_e32 vcc_lo, 0x40f, v5
	v_cndmask_b32_e32 v0, v6, v0, vcc_lo
	v_cmp_eq_u32_e32 vcc_lo, 0x40f, v7
	v_and_or_b32 v0, 0x8000, v1, v0
	v_cndmask_b32_e32 v2, v4, v2, vcc_lo
	v_and_or_b32 v2, 0x8000, v3, v2
	v_and_b32_e32 v3, 0xffff, v0
	v_add_co_u32 v0, vcc_lo, v36, s22
	v_add_co_ci_u32_e32 v1, vcc_lo, s23, v37, vcc_lo
	v_lshl_or_b32 v2, v2, 16, v3
	ds_read_b32 v3, v35 offset:2196
	global_store_dword v[0:1], v2, off
	global_load_dword v2, v[10:11], off offset:148
	s_waitcnt lgkmcnt(0)
	v_lshrrev_b32_e32 v4, 16, v3
	s_waitcnt vmcnt(0)
	v_mul_f16_sdwa v5, v4, v2 dst_sel:DWORD dst_unused:UNUSED_PAD src0_sel:DWORD src1_sel:WORD_1
	v_mul_f16_sdwa v6, v3, v2 dst_sel:DWORD dst_unused:UNUSED_PAD src0_sel:DWORD src1_sel:WORD_1
	v_fmac_f16_e32 v5, v3, v2
	v_fma_f16 v2, v2, v4, -v6
	v_cvt_f32_f16_e32 v3, v5
	v_cvt_f32_f16_e32 v4, v2
	v_cvt_f64_f32_e32 v[2:3], v3
	v_cvt_f64_f32_e32 v[4:5], v4
	v_mul_f64 v[2:3], v[2:3], s[20:21]
	v_mul_f64 v[4:5], v[4:5], s[20:21]
	v_and_or_b32 v2, 0x1ff, v3, v2
	v_and_or_b32 v4, 0x1ff, v5, v4
	v_lshrrev_b32_e32 v6, 8, v3
	v_bfe_u32 v7, v3, 20, 11
	v_lshrrev_b32_e32 v8, 8, v5
	v_cmp_ne_u32_e32 vcc_lo, 0, v2
	v_bfe_u32 v9, v5, 20, 11
	v_lshrrev_b32_e32 v3, 16, v3
	v_sub_nc_u32_e32 v10, 0x3f1, v7
	v_add_nc_u32_e32 v7, 0xfffffc10, v7
	v_cndmask_b32_e64 v2, 0, 1, vcc_lo
	v_cmp_ne_u32_e32 vcc_lo, 0, v4
	v_lshrrev_b32_e32 v5, 16, v5
	v_and_or_b32 v2, 0xffe, v6, v2
	v_cndmask_b32_e64 v4, 0, 1, vcc_lo
	v_sub_nc_u32_e32 v6, 0x3f1, v9
	v_add_nc_u32_e32 v9, 0xfffffc10, v9
	v_and_or_b32 v4, 0xffe, v8, v4
	v_med3_i32 v8, v10, 0, 13
	v_or_b32_e32 v10, 0x1000, v2
	v_med3_i32 v6, v6, 0, 13
	v_or_b32_e32 v11, 0x1000, v4
	v_lshrrev_b32_e32 v12, v8, v10
	v_lshrrev_b32_e32 v13, v6, v11
	v_lshlrev_b32_e32 v8, v8, v12
	v_lshlrev_b32_e32 v6, v6, v13
	v_cmp_ne_u32_e32 vcc_lo, v8, v10
	v_lshl_or_b32 v10, v7, 12, v2
	v_cndmask_b32_e64 v8, 0, 1, vcc_lo
	v_cmp_ne_u32_e32 vcc_lo, v6, v11
	v_lshl_or_b32 v11, v9, 12, v4
	v_or_b32_e32 v8, v12, v8
	v_cndmask_b32_e64 v6, 0, 1, vcc_lo
	v_cmp_gt_i32_e32 vcc_lo, 1, v7
	v_or_b32_e32 v6, v13, v6
	v_cndmask_b32_e32 v8, v10, v8, vcc_lo
	v_cmp_gt_i32_e32 vcc_lo, 1, v9
	v_and_b32_e32 v10, 7, v8
	v_cndmask_b32_e32 v6, v11, v6, vcc_lo
	v_cmp_ne_u32_e32 vcc_lo, 0, v2
	v_lshrrev_b32_e32 v8, 2, v8
	v_cmp_eq_u32_e64 s0, 3, v10
	v_and_b32_e32 v11, 7, v6
	v_cndmask_b32_e64 v2, 0, 1, vcc_lo
	v_cmp_ne_u32_e32 vcc_lo, 0, v4
	v_lshrrev_b32_e32 v6, 2, v6
	v_cmp_lt_i32_e64 s1, 5, v11
	v_cmp_eq_u32_e64 s2, 3, v11
	v_cndmask_b32_e64 v4, 0, 1, vcc_lo
	v_cmp_lt_i32_e32 vcc_lo, 5, v10
	v_lshl_or_b32 v2, v2, 9, 0x7c00
	v_lshl_or_b32 v4, v4, 9, 0x7c00
	s_or_b32 vcc_lo, s0, vcc_lo
	v_add_co_ci_u32_e32 v8, vcc_lo, 0, v8, vcc_lo
	s_or_b32 vcc_lo, s2, s1
	v_add_co_ci_u32_e32 v6, vcc_lo, 0, v6, vcc_lo
	v_cmp_gt_i32_e32 vcc_lo, 31, v7
	v_cndmask_b32_e32 v8, 0x7c00, v8, vcc_lo
	v_cmp_gt_i32_e32 vcc_lo, 31, v9
	v_cndmask_b32_e32 v6, 0x7c00, v6, vcc_lo
	v_cmp_eq_u32_e32 vcc_lo, 0x40f, v7
	v_cndmask_b32_e32 v2, v8, v2, vcc_lo
	v_cmp_eq_u32_e32 vcc_lo, 0x40f, v9
	v_and_or_b32 v2, 0x8000, v3, v2
	v_cndmask_b32_e32 v4, v6, v4, vcc_lo
	v_add_co_u32 v0, vcc_lo, v0, s22
	v_add_co_ci_u32_e32 v1, vcc_lo, s23, v1, vcc_lo
	v_and_or_b32 v3, 0x8000, v5, v4
	v_and_b32_e32 v2, 0xffff, v2
	v_lshl_or_b32 v2, v3, 16, v2
	global_store_dword v[0:1], v2, off
.LBB0_15:
	s_endpgm
	.section	.rodata,"a",@progbits
	.p2align	6, 0x0
	.amdhsa_kernel bluestein_single_fwd_len567_dim1_half_op_CI_CI
		.amdhsa_group_segment_fixed_size 2268
		.amdhsa_private_segment_fixed_size 0
		.amdhsa_kernarg_size 104
		.amdhsa_user_sgpr_count 6
		.amdhsa_user_sgpr_private_segment_buffer 1
		.amdhsa_user_sgpr_dispatch_ptr 0
		.amdhsa_user_sgpr_queue_ptr 0
		.amdhsa_user_sgpr_kernarg_segment_ptr 1
		.amdhsa_user_sgpr_dispatch_id 0
		.amdhsa_user_sgpr_flat_scratch_init 0
		.amdhsa_user_sgpr_private_segment_size 0
		.amdhsa_wavefront_size32 1
		.amdhsa_uses_dynamic_stack 0
		.amdhsa_system_sgpr_private_segment_wavefront_offset 0
		.amdhsa_system_sgpr_workgroup_id_x 1
		.amdhsa_system_sgpr_workgroup_id_y 0
		.amdhsa_system_sgpr_workgroup_id_z 0
		.amdhsa_system_sgpr_workgroup_info 0
		.amdhsa_system_vgpr_workitem_id 0
		.amdhsa_next_free_vgpr 78
		.amdhsa_next_free_sgpr 24
		.amdhsa_reserve_vcc 1
		.amdhsa_reserve_flat_scratch 0
		.amdhsa_float_round_mode_32 0
		.amdhsa_float_round_mode_16_64 0
		.amdhsa_float_denorm_mode_32 3
		.amdhsa_float_denorm_mode_16_64 3
		.amdhsa_dx10_clamp 1
		.amdhsa_ieee_mode 1
		.amdhsa_fp16_overflow 0
		.amdhsa_workgroup_processor_mode 1
		.amdhsa_memory_ordered 1
		.amdhsa_forward_progress 0
		.amdhsa_shared_vgpr_count 0
		.amdhsa_exception_fp_ieee_invalid_op 0
		.amdhsa_exception_fp_denorm_src 0
		.amdhsa_exception_fp_ieee_div_zero 0
		.amdhsa_exception_fp_ieee_overflow 0
		.amdhsa_exception_fp_ieee_underflow 0
		.amdhsa_exception_fp_ieee_inexact 0
		.amdhsa_exception_int_div_zero 0
	.end_amdhsa_kernel
	.text
.Lfunc_end0:
	.size	bluestein_single_fwd_len567_dim1_half_op_CI_CI, .Lfunc_end0-bluestein_single_fwd_len567_dim1_half_op_CI_CI
                                        ; -- End function
	.section	.AMDGPU.csdata,"",@progbits
; Kernel info:
; codeLenInByte = 18204
; NumSgprs: 26
; NumVgprs: 78
; ScratchSize: 0
; MemoryBound: 0
; FloatMode: 240
; IeeeMode: 1
; LDSByteSize: 2268 bytes/workgroup (compile time only)
; SGPRBlocks: 3
; VGPRBlocks: 9
; NumSGPRsForWavesPerEU: 26
; NumVGPRsForWavesPerEU: 78
; Occupancy: 12
; WaveLimiterHint : 1
; COMPUTE_PGM_RSRC2:SCRATCH_EN: 0
; COMPUTE_PGM_RSRC2:USER_SGPR: 6
; COMPUTE_PGM_RSRC2:TRAP_HANDLER: 0
; COMPUTE_PGM_RSRC2:TGID_X_EN: 1
; COMPUTE_PGM_RSRC2:TGID_Y_EN: 0
; COMPUTE_PGM_RSRC2:TGID_Z_EN: 0
; COMPUTE_PGM_RSRC2:TIDIG_COMP_CNT: 0
	.text
	.p2alignl 6, 3214868480
	.fill 48, 4, 3214868480
	.type	__hip_cuid_967ea0c8074fdd97,@object ; @__hip_cuid_967ea0c8074fdd97
	.section	.bss,"aw",@nobits
	.globl	__hip_cuid_967ea0c8074fdd97
__hip_cuid_967ea0c8074fdd97:
	.byte	0                               ; 0x0
	.size	__hip_cuid_967ea0c8074fdd97, 1

	.ident	"AMD clang version 19.0.0git (https://github.com/RadeonOpenCompute/llvm-project roc-6.4.0 25133 c7fe45cf4b819c5991fe208aaa96edf142730f1d)"
	.section	".note.GNU-stack","",@progbits
	.addrsig
	.addrsig_sym __hip_cuid_967ea0c8074fdd97
	.amdgpu_metadata
---
amdhsa.kernels:
  - .args:
      - .actual_access:  read_only
        .address_space:  global
        .offset:         0
        .size:           8
        .value_kind:     global_buffer
      - .actual_access:  read_only
        .address_space:  global
        .offset:         8
        .size:           8
        .value_kind:     global_buffer
      - .actual_access:  read_only
        .address_space:  global
        .offset:         16
        .size:           8
        .value_kind:     global_buffer
      - .actual_access:  read_only
        .address_space:  global
        .offset:         24
        .size:           8
        .value_kind:     global_buffer
      - .actual_access:  read_only
        .address_space:  global
        .offset:         32
        .size:           8
        .value_kind:     global_buffer
      - .offset:         40
        .size:           8
        .value_kind:     by_value
      - .address_space:  global
        .offset:         48
        .size:           8
        .value_kind:     global_buffer
      - .address_space:  global
        .offset:         56
        .size:           8
        .value_kind:     global_buffer
      - .address_space:  global
        .offset:         64
        .size:           8
        .value_kind:     global_buffer
      - .address_space:  global
        .offset:         72
        .size:           8
        .value_kind:     global_buffer
      - .offset:         80
        .size:           4
        .value_kind:     by_value
      - .address_space:  global
        .offset:         88
        .size:           8
        .value_kind:     global_buffer
      - .address_space:  global
        .offset:         96
        .size:           8
        .value_kind:     global_buffer
    .group_segment_fixed_size: 2268
    .kernarg_segment_align: 8
    .kernarg_segment_size: 104
    .language:       OpenCL C
    .language_version:
      - 2
      - 0
    .max_flat_workgroup_size: 63
    .name:           bluestein_single_fwd_len567_dim1_half_op_CI_CI
    .private_segment_fixed_size: 0
    .sgpr_count:     26
    .sgpr_spill_count: 0
    .symbol:         bluestein_single_fwd_len567_dim1_half_op_CI_CI.kd
    .uniform_work_group_size: 1
    .uses_dynamic_stack: false
    .vgpr_count:     78
    .vgpr_spill_count: 0
    .wavefront_size: 32
    .workgroup_processor_mode: 1
amdhsa.target:   amdgcn-amd-amdhsa--gfx1030
amdhsa.version:
  - 1
  - 2
...

	.end_amdgpu_metadata
